;; amdgpu-corpus repo=ROCm/rocFFT kind=compiled arch=gfx1030 opt=O3
	.text
	.amdgcn_target "amdgcn-amd-amdhsa--gfx1030"
	.amdhsa_code_object_version 6
	.protected	fft_rtc_fwd_len4050_factors_10_5_3_3_3_3_wgs_135_tpt_135_halfLds_sp_ip_CI_unitstride_sbrr_C2R_dirReg ; -- Begin function fft_rtc_fwd_len4050_factors_10_5_3_3_3_3_wgs_135_tpt_135_halfLds_sp_ip_CI_unitstride_sbrr_C2R_dirReg
	.globl	fft_rtc_fwd_len4050_factors_10_5_3_3_3_3_wgs_135_tpt_135_halfLds_sp_ip_CI_unitstride_sbrr_C2R_dirReg
	.p2align	8
	.type	fft_rtc_fwd_len4050_factors_10_5_3_3_3_3_wgs_135_tpt_135_halfLds_sp_ip_CI_unitstride_sbrr_C2R_dirReg,@function
fft_rtc_fwd_len4050_factors_10_5_3_3_3_3_wgs_135_tpt_135_halfLds_sp_ip_CI_unitstride_sbrr_C2R_dirReg: ; @fft_rtc_fwd_len4050_factors_10_5_3_3_3_3_wgs_135_tpt_135_halfLds_sp_ip_CI_unitstride_sbrr_C2R_dirReg
; %bb.0:
	s_clause 0x2
	s_load_dwordx4 s[8:11], s[4:5], 0x0
	s_load_dwordx2 s[2:3], s[4:5], 0x50
	s_load_dwordx2 s[12:13], s[4:5], 0x18
	v_mul_u32_u24_e32 v1, 0x1e6, v0
	v_mov_b32_e32 v3, 0
	v_add_nc_u32_sdwa v5, s6, v1 dst_sel:DWORD dst_unused:UNUSED_PAD src0_sel:DWORD src1_sel:WORD_1
	v_mov_b32_e32 v1, 0
	v_mov_b32_e32 v6, v3
	v_mov_b32_e32 v2, 0
	s_waitcnt lgkmcnt(0)
	v_cmp_lt_u64_e64 s0, s[10:11], 2
	s_and_b32 vcc_lo, exec_lo, s0
	s_cbranch_vccnz .LBB0_8
; %bb.1:
	s_load_dwordx2 s[0:1], s[4:5], 0x10
	v_mov_b32_e32 v1, 0
	s_add_u32 s6, s12, 8
	v_mov_b32_e32 v2, 0
	s_addc_u32 s7, s13, 0
	s_mov_b64 s[16:17], 1
	s_waitcnt lgkmcnt(0)
	s_add_u32 s14, s0, 8
	s_addc_u32 s15, s1, 0
.LBB0_2:                                ; =>This Inner Loop Header: Depth=1
	s_load_dwordx2 s[18:19], s[14:15], 0x0
                                        ; implicit-def: $vgpr7_vgpr8
	s_mov_b32 s0, exec_lo
	s_waitcnt lgkmcnt(0)
	v_or_b32_e32 v4, s19, v6
	v_cmpx_ne_u64_e32 0, v[3:4]
	s_xor_b32 s1, exec_lo, s0
	s_cbranch_execz .LBB0_4
; %bb.3:                                ;   in Loop: Header=BB0_2 Depth=1
	v_cvt_f32_u32_e32 v4, s18
	v_cvt_f32_u32_e32 v7, s19
	s_sub_u32 s0, 0, s18
	s_subb_u32 s20, 0, s19
	v_fmac_f32_e32 v4, 0x4f800000, v7
	v_rcp_f32_e32 v4, v4
	v_mul_f32_e32 v4, 0x5f7ffffc, v4
	v_mul_f32_e32 v7, 0x2f800000, v4
	v_trunc_f32_e32 v7, v7
	v_fmac_f32_e32 v4, 0xcf800000, v7
	v_cvt_u32_f32_e32 v7, v7
	v_cvt_u32_f32_e32 v4, v4
	v_mul_lo_u32 v8, s0, v7
	v_mul_hi_u32 v9, s0, v4
	v_mul_lo_u32 v10, s20, v4
	v_add_nc_u32_e32 v8, v9, v8
	v_mul_lo_u32 v9, s0, v4
	v_add_nc_u32_e32 v8, v8, v10
	v_mul_hi_u32 v10, v4, v9
	v_mul_lo_u32 v11, v4, v8
	v_mul_hi_u32 v12, v4, v8
	v_mul_hi_u32 v13, v7, v9
	v_mul_lo_u32 v9, v7, v9
	v_mul_hi_u32 v14, v7, v8
	v_mul_lo_u32 v8, v7, v8
	v_add_co_u32 v10, vcc_lo, v10, v11
	v_add_co_ci_u32_e32 v11, vcc_lo, 0, v12, vcc_lo
	v_add_co_u32 v9, vcc_lo, v10, v9
	v_add_co_ci_u32_e32 v9, vcc_lo, v11, v13, vcc_lo
	v_add_co_ci_u32_e32 v10, vcc_lo, 0, v14, vcc_lo
	v_add_co_u32 v8, vcc_lo, v9, v8
	v_add_co_ci_u32_e32 v9, vcc_lo, 0, v10, vcc_lo
	v_add_co_u32 v4, vcc_lo, v4, v8
	v_add_co_ci_u32_e32 v7, vcc_lo, v7, v9, vcc_lo
	v_mul_hi_u32 v8, s0, v4
	v_mul_lo_u32 v10, s20, v4
	v_mul_lo_u32 v9, s0, v7
	v_add_nc_u32_e32 v8, v8, v9
	v_mul_lo_u32 v9, s0, v4
	v_add_nc_u32_e32 v8, v8, v10
	v_mul_hi_u32 v10, v4, v9
	v_mul_lo_u32 v11, v4, v8
	v_mul_hi_u32 v12, v4, v8
	v_mul_hi_u32 v13, v7, v9
	v_mul_lo_u32 v9, v7, v9
	v_mul_hi_u32 v14, v7, v8
	v_mul_lo_u32 v8, v7, v8
	v_add_co_u32 v10, vcc_lo, v10, v11
	v_add_co_ci_u32_e32 v11, vcc_lo, 0, v12, vcc_lo
	v_add_co_u32 v9, vcc_lo, v10, v9
	v_add_co_ci_u32_e32 v9, vcc_lo, v11, v13, vcc_lo
	v_add_co_ci_u32_e32 v10, vcc_lo, 0, v14, vcc_lo
	v_add_co_u32 v8, vcc_lo, v9, v8
	v_add_co_ci_u32_e32 v9, vcc_lo, 0, v10, vcc_lo
	v_add_co_u32 v4, vcc_lo, v4, v8
	v_add_co_ci_u32_e32 v11, vcc_lo, v7, v9, vcc_lo
	v_mul_hi_u32 v13, v5, v4
	v_mad_u64_u32 v[9:10], null, v6, v4, 0
	v_mad_u64_u32 v[7:8], null, v5, v11, 0
	;; [unrolled: 1-line block ×3, first 2 shown]
	v_add_co_u32 v4, vcc_lo, v13, v7
	v_add_co_ci_u32_e32 v7, vcc_lo, 0, v8, vcc_lo
	v_add_co_u32 v4, vcc_lo, v4, v9
	v_add_co_ci_u32_e32 v4, vcc_lo, v7, v10, vcc_lo
	v_add_co_ci_u32_e32 v7, vcc_lo, 0, v12, vcc_lo
	v_add_co_u32 v4, vcc_lo, v4, v11
	v_add_co_ci_u32_e32 v9, vcc_lo, 0, v7, vcc_lo
	v_mul_lo_u32 v10, s19, v4
	v_mad_u64_u32 v[7:8], null, s18, v4, 0
	v_mul_lo_u32 v11, s18, v9
	v_sub_co_u32 v7, vcc_lo, v5, v7
	v_add3_u32 v8, v8, v11, v10
	v_sub_nc_u32_e32 v10, v6, v8
	v_subrev_co_ci_u32_e64 v10, s0, s19, v10, vcc_lo
	v_add_co_u32 v11, s0, v4, 2
	v_add_co_ci_u32_e64 v12, s0, 0, v9, s0
	v_sub_co_u32 v13, s0, v7, s18
	v_sub_co_ci_u32_e32 v8, vcc_lo, v6, v8, vcc_lo
	v_subrev_co_ci_u32_e64 v10, s0, 0, v10, s0
	v_cmp_le_u32_e32 vcc_lo, s18, v13
	v_cmp_eq_u32_e64 s0, s19, v8
	v_cndmask_b32_e64 v13, 0, -1, vcc_lo
	v_cmp_le_u32_e32 vcc_lo, s19, v10
	v_cndmask_b32_e64 v14, 0, -1, vcc_lo
	v_cmp_le_u32_e32 vcc_lo, s18, v7
	;; [unrolled: 2-line block ×3, first 2 shown]
	v_cndmask_b32_e64 v15, 0, -1, vcc_lo
	v_cmp_eq_u32_e32 vcc_lo, s19, v10
	v_cndmask_b32_e64 v7, v15, v7, s0
	v_cndmask_b32_e32 v10, v14, v13, vcc_lo
	v_add_co_u32 v13, vcc_lo, v4, 1
	v_add_co_ci_u32_e32 v14, vcc_lo, 0, v9, vcc_lo
	v_cmp_ne_u32_e32 vcc_lo, 0, v10
	v_cndmask_b32_e32 v8, v14, v12, vcc_lo
	v_cndmask_b32_e32 v10, v13, v11, vcc_lo
	v_cmp_ne_u32_e32 vcc_lo, 0, v7
	v_cndmask_b32_e32 v8, v9, v8, vcc_lo
	v_cndmask_b32_e32 v7, v4, v10, vcc_lo
.LBB0_4:                                ;   in Loop: Header=BB0_2 Depth=1
	s_andn2_saveexec_b32 s0, s1
	s_cbranch_execz .LBB0_6
; %bb.5:                                ;   in Loop: Header=BB0_2 Depth=1
	v_cvt_f32_u32_e32 v4, s18
	s_sub_i32 s1, 0, s18
	v_rcp_iflag_f32_e32 v4, v4
	v_mul_f32_e32 v4, 0x4f7ffffe, v4
	v_cvt_u32_f32_e32 v4, v4
	v_mul_lo_u32 v7, s1, v4
	v_mul_hi_u32 v7, v4, v7
	v_add_nc_u32_e32 v4, v4, v7
	v_mul_hi_u32 v4, v5, v4
	v_mul_lo_u32 v7, v4, s18
	v_add_nc_u32_e32 v8, 1, v4
	v_sub_nc_u32_e32 v7, v5, v7
	v_subrev_nc_u32_e32 v9, s18, v7
	v_cmp_le_u32_e32 vcc_lo, s18, v7
	v_cndmask_b32_e32 v7, v7, v9, vcc_lo
	v_cndmask_b32_e32 v4, v4, v8, vcc_lo
	v_cmp_le_u32_e32 vcc_lo, s18, v7
	v_add_nc_u32_e32 v8, 1, v4
	v_cndmask_b32_e32 v7, v4, v8, vcc_lo
	v_mov_b32_e32 v8, v3
.LBB0_6:                                ;   in Loop: Header=BB0_2 Depth=1
	s_or_b32 exec_lo, exec_lo, s0
	s_load_dwordx2 s[0:1], s[6:7], 0x0
	v_mul_lo_u32 v4, v8, s18
	v_mul_lo_u32 v11, v7, s19
	v_mad_u64_u32 v[9:10], null, v7, s18, 0
	s_add_u32 s16, s16, 1
	s_addc_u32 s17, s17, 0
	s_add_u32 s6, s6, 8
	s_addc_u32 s7, s7, 0
	;; [unrolled: 2-line block ×3, first 2 shown]
	v_add3_u32 v4, v10, v11, v4
	v_sub_co_u32 v5, vcc_lo, v5, v9
	v_sub_co_ci_u32_e32 v4, vcc_lo, v6, v4, vcc_lo
	s_waitcnt lgkmcnt(0)
	v_mul_lo_u32 v6, s1, v5
	v_mul_lo_u32 v4, s0, v4
	v_mad_u64_u32 v[1:2], null, s0, v5, v[1:2]
	v_cmp_ge_u64_e64 s0, s[16:17], s[10:11]
	s_and_b32 vcc_lo, exec_lo, s0
	v_add3_u32 v2, v6, v2, v4
	s_cbranch_vccnz .LBB0_9
; %bb.7:                                ;   in Loop: Header=BB0_2 Depth=1
	v_mov_b32_e32 v5, v7
	v_mov_b32_e32 v6, v8
	s_branch .LBB0_2
.LBB0_8:
	v_mov_b32_e32 v8, v6
	v_mov_b32_e32 v7, v5
.LBB0_9:
	s_lshl_b64 s[0:1], s[10:11], 3
	v_mul_hi_u32 v5, 0x1e573ad, v0
	s_add_u32 s0, s12, s0
	s_addc_u32 s1, s13, s1
	s_load_dwordx2 s[0:1], s[0:1], 0x0
	s_load_dwordx2 s[4:5], s[4:5], 0x20
	s_waitcnt lgkmcnt(0)
	v_mul_lo_u32 v3, s0, v8
	v_mul_lo_u32 v4, s1, v7
	v_mad_u64_u32 v[1:2], null, s0, v7, v[1:2]
	v_cmp_gt_u64_e32 vcc_lo, s[4:5], v[7:8]
	v_add3_u32 v2, v4, v2, v3
	v_mul_u32_u24_e32 v3, 0x87, v5
	v_lshlrev_b64 v[58:59], 3, v[1:2]
	v_sub_nc_u32_e32 v56, v0, v3
	s_and_saveexec_b32 s1, vcc_lo
	s_cbranch_execz .LBB0_13
; %bb.10:
	v_mov_b32_e32 v57, 0
	v_add_co_u32 v0, s0, s2, v58
	v_add_co_ci_u32_e64 v1, s0, s3, v59, s0
	v_lshlrev_b64 v[2:3], 3, v[56:57]
	v_lshl_add_u32 v66, v56, 3, 0
	v_add_nc_u32_e32 v67, 0x800, v66
	v_add_co_u32 v2, s0, v0, v2
	v_add_co_ci_u32_e64 v3, s0, v1, v3, s0
	v_add_nc_u32_e32 v68, 0x1000, v66
	v_add_co_u32 v4, s0, 0x800, v2
	v_add_co_ci_u32_e64 v5, s0, 0, v3, s0
	v_add_co_u32 v6, s0, 0x1000, v2
	v_add_co_ci_u32_e64 v7, s0, 0, v3, s0
	v_add_co_u32 v14, s0, 0x1800, v2
	v_add_co_ci_u32_e64 v15, s0, 0, v3, s0
	v_add_co_u32 v16, s0, 0x2000, v2
	v_add_co_ci_u32_e64 v17, s0, 0, v3, s0
	v_add_co_u32 v18, s0, 0x2800, v2
	v_add_co_ci_u32_e64 v19, s0, 0, v3, s0
	v_add_co_u32 v20, s0, 0x3000, v2
	v_add_co_ci_u32_e64 v21, s0, 0, v3, s0
	v_add_co_u32 v22, s0, 0x3800, v2
	v_add_co_ci_u32_e64 v23, s0, 0, v3, s0
	v_add_co_u32 v24, s0, 0x4000, v2
	v_add_co_ci_u32_e64 v25, s0, 0, v3, s0
	v_add_co_u32 v26, s0, 0x4800, v2
	v_add_co_ci_u32_e64 v27, s0, 0, v3, s0
	v_add_co_u32 v28, s0, 0x5000, v2
	v_add_co_ci_u32_e64 v29, s0, 0, v3, s0
	v_add_co_u32 v30, s0, 0x5800, v2
	v_add_co_ci_u32_e64 v31, s0, 0, v3, s0
	v_add_co_u32 v32, s0, 0x6000, v2
	v_add_co_ci_u32_e64 v33, s0, 0, v3, s0
	v_add_co_u32 v34, s0, 0x6800, v2
	v_add_co_ci_u32_e64 v35, s0, 0, v3, s0
	v_add_co_u32 v36, s0, 0x7000, v2
	v_add_co_ci_u32_e64 v37, s0, 0, v3, s0
	s_clause 0x3
	global_load_dwordx2 v[8:9], v[2:3], off
	global_load_dwordx2 v[10:11], v[4:5], off offset:1192
	global_load_dwordx2 v[4:5], v[4:5], off offset:112
	;; [unrolled: 1-line block ×3, first 2 shown]
	v_add_co_u32 v2, s0, 0x7800, v2
	v_add_co_ci_u32_e64 v3, s0, 0, v3, s0
	s_clause 0x19
	global_load_dwordx2 v[38:39], v[6:7], off offset:224
	global_load_dwordx2 v[6:7], v[6:7], off offset:1304
	global_load_dwordx2 v[40:41], v[14:15], off offset:336
	global_load_dwordx2 v[14:15], v[14:15], off offset:1416
	global_load_dwordx2 v[42:43], v[16:17], off offset:448
	global_load_dwordx2 v[16:17], v[16:17], off offset:1528
	global_load_dwordx2 v[44:45], v[18:19], off offset:560
	global_load_dwordx2 v[18:19], v[18:19], off offset:1640
	global_load_dwordx2 v[46:47], v[20:21], off offset:672
	global_load_dwordx2 v[20:21], v[20:21], off offset:1752
	global_load_dwordx2 v[48:49], v[22:23], off offset:784
	global_load_dwordx2 v[22:23], v[22:23], off offset:1864
	global_load_dwordx2 v[50:51], v[24:25], off offset:896
	global_load_dwordx2 v[24:25], v[24:25], off offset:1976
	global_load_dwordx2 v[26:27], v[26:27], off offset:1008
	global_load_dwordx2 v[52:53], v[28:29], off offset:40
	global_load_dwordx2 v[28:29], v[28:29], off offset:1120
	global_load_dwordx2 v[54:55], v[30:31], off offset:152
	global_load_dwordx2 v[30:31], v[30:31], off offset:1232
	global_load_dwordx2 v[60:61], v[32:33], off offset:264
	global_load_dwordx2 v[32:33], v[32:33], off offset:1344
	global_load_dwordx2 v[62:63], v[34:35], off offset:376
	global_load_dwordx2 v[34:35], v[34:35], off offset:1456
	global_load_dwordx2 v[64:65], v[36:37], off offset:488
	global_load_dwordx2 v[36:37], v[36:37], off offset:1568
	global_load_dwordx2 v[2:3], v[2:3], off offset:600
	v_cmp_eq_u32_e64 s0, 0x86, v56
	v_add_nc_u32_e32 v69, 0x1800, v66
	v_add_nc_u32_e32 v70, 0x2000, v66
	;; [unrolled: 1-line block ×12, first 2 shown]
	s_waitcnt vmcnt(27)
	ds_write2_b64 v67, v[4:5], v[10:11] offset0:14 offset1:149
	s_waitcnt vmcnt(24)
	ds_write2_b64 v68, v[38:39], v[6:7] offset0:28 offset1:163
	;; [unrolled: 2-line block ×4, first 2 shown]
	ds_write2_b64 v66, v[8:9], v[12:13] offset1:135
	s_waitcnt vmcnt(18)
	ds_write2_b64 v71, v[44:45], v[18:19] offset0:70 offset1:205
	s_waitcnt vmcnt(16)
	ds_write2_b64 v72, v[46:47], v[20:21] offset0:84 offset1:219
	;; [unrolled: 2-line block ×10, first 2 shown]
	s_and_saveexec_b32 s4, s0
	s_cbranch_execz .LBB0_12
; %bb.11:
	v_add_co_u32 v0, s0, 0x7800, v0
	v_add_co_ci_u32_e64 v1, s0, 0, v1, s0
	v_mov_b32_e32 v56, 0x86
	global_load_dwordx2 v[0:1], v[0:1], off offset:1680
	s_waitcnt vmcnt(0)
	ds_write_b64 v57, v[0:1] offset:32400
.LBB0_12:
	s_or_b32 exec_lo, exec_lo, s4
.LBB0_13:
	s_or_b32 exec_lo, exec_lo, s1
	v_lshlrev_b32_e32 v0, 3, v56
	s_waitcnt lgkmcnt(0)
	s_barrier
	buffer_gl0_inv
	s_add_u32 s1, s8, 0x7e40
	v_add_nc_u32_e32 v60, 0, v0
	v_sub_nc_u32_e32 v4, 0, v0
	s_addc_u32 s4, s9, 0
	s_mov_b32 s5, exec_lo
                                        ; implicit-def: $vgpr2_vgpr3
	ds_read_b32 v5, v60
	ds_read_b32 v6, v4 offset:32400
	s_waitcnt lgkmcnt(0)
	v_add_f32_e32 v0, v6, v5
	v_sub_f32_e32 v1, v5, v6
	v_cmpx_ne_u32_e32 0, v56
	s_xor_b32 s5, exec_lo, s5
	s_cbranch_execz .LBB0_15
; %bb.14:
	v_mov_b32_e32 v57, 0
	v_add_f32_e32 v7, v6, v5
	v_sub_f32_e32 v8, v5, v6
	v_lshlrev_b64 v[0:1], 3, v[56:57]
	v_add_co_u32 v0, s0, s1, v0
	v_add_co_ci_u32_e64 v1, s0, s4, v1, s0
	global_load_dwordx2 v[2:3], v[0:1], off
	ds_read_b32 v0, v4 offset:32404
	ds_read_b32 v1, v60 offset:4
	s_waitcnt lgkmcnt(0)
	v_add_f32_e32 v9, v0, v1
	v_sub_f32_e32 v0, v1, v0
	s_waitcnt vmcnt(0)
	v_fma_f32 v5, -v8, v3, v7
	v_fma_f32 v6, v9, v3, -v0
	v_fma_f32 v10, v8, v3, v7
	v_fma_f32 v1, v9, v3, v0
	v_fmac_f32_e32 v5, v2, v9
	v_fmac_f32_e32 v6, v8, v2
	v_fma_f32 v0, -v2, v9, v10
	v_fmac_f32_e32 v1, v8, v2
	v_mov_b32_e32 v2, v56
	v_mov_b32_e32 v3, v57
	ds_write_b64 v4, v[5:6] offset:32400
.LBB0_15:
	s_andn2_saveexec_b32 s0, s5
	s_cbranch_execz .LBB0_17
; %bb.16:
	v_mov_b32_e32 v7, 0
	ds_read_b64 v[2:3], v7 offset:16200
	s_waitcnt lgkmcnt(0)
	v_add_f32_e32 v5, v2, v2
	v_mul_f32_e32 v6, -2.0, v3
	v_mov_b32_e32 v2, 0
	v_mov_b32_e32 v3, 0
	ds_write_b64 v7, v[5:6] offset:16200
.LBB0_17:
	s_or_b32 exec_lo, exec_lo, s0
	v_lshlrev_b64 v[2:3], 3, v[2:3]
	v_add_nc_u32_e32 v57, 0x1800, v60
	v_add_nc_u32_e32 v63, 0x3000, v60
	;; [unrolled: 1-line block ×5, first 2 shown]
	v_add_co_u32 v2, s0, s1, v2
	v_add_co_ci_u32_e64 v3, s0, s4, v3, s0
	v_add_nc_u32_e32 v65, 0x2000, v60
	v_add_co_u32 v7, s0, 0x800, v2
	global_load_dwordx2 v[5:6], v[2:3], off offset:1080
	v_add_co_ci_u32_e64 v8, s0, 0, v3, s0
	v_add_co_u32 v11, s0, 0x1000, v2
	s_clause 0x1
	global_load_dwordx2 v[9:10], v[7:8], off offset:112
	global_load_dwordx2 v[7:8], v[7:8], off offset:1192
	v_add_co_ci_u32_e64 v12, s0, 0, v3, s0
	s_clause 0x1
	global_load_dwordx2 v[13:14], v[11:12], off offset:224
	global_load_dwordx2 v[11:12], v[11:12], off offset:1304
	v_add_co_u32 v15, s0, 0x1800, v2
	v_add_co_ci_u32_e64 v16, s0, 0, v3, s0
	s_clause 0x1
	global_load_dwordx2 v[17:18], v[15:16], off offset:336
	global_load_dwordx2 v[15:16], v[15:16], off offset:1416
	ds_write_b64 v60, v[0:1]
	v_add_co_u32 v0, s0, 0x2000, v2
	v_add_co_ci_u32_e64 v1, s0, 0, v3, s0
	ds_read_b64 v[19:20], v60 offset:1080
	ds_read_b64 v[21:22], v4 offset:31320
	v_add_nc_u32_e32 v67, 0x3800, v60
	v_add_nc_u32_e32 v70, 0x5400, v60
	global_load_dwordx2 v[23:24], v[0:1], off offset:448
	v_add_nc_u32_e32 v66, 0x6c00, v60
	v_add_nc_u32_e32 v69, 0x2800, v60
	;; [unrolled: 1-line block ×6, first 2 shown]
	s_waitcnt lgkmcnt(0)
	v_add_f32_e32 v25, v19, v21
	v_add_f32_e32 v26, v22, v20
	v_sub_f32_e32 v27, v19, v21
	v_sub_f32_e32 v19, v20, v22
	s_waitcnt vmcnt(7)
	v_fma_f32 v28, v27, v6, v25
	v_fma_f32 v20, v26, v6, v19
	v_fma_f32 v21, -v27, v6, v25
	v_fma_f32 v22, v26, v6, -v19
	v_fma_f32 v19, -v5, v26, v28
	v_fmac_f32_e32 v20, v27, v5
	v_fmac_f32_e32 v21, v5, v26
	;; [unrolled: 1-line block ×3, first 2 shown]
	ds_write_b64 v60, v[19:20] offset:1080
	ds_write_b64 v4, v[21:22] offset:31320
	ds_read_b64 v[5:6], v60 offset:2160
	ds_read_b64 v[19:20], v4 offset:30240
	global_load_dwordx2 v[0:1], v[0:1], off offset:1528
	s_waitcnt lgkmcnt(0)
	v_add_f32_e32 v21, v5, v19
	v_add_f32_e32 v22, v20, v6
	v_sub_f32_e32 v25, v5, v19
	v_sub_f32_e32 v5, v6, v20
	s_waitcnt vmcnt(7)
	v_fma_f32 v26, v25, v10, v21
	v_fma_f32 v6, v22, v10, v5
	v_fma_f32 v19, -v25, v10, v21
	v_fma_f32 v20, v22, v10, -v5
	v_fma_f32 v5, -v9, v22, v26
	v_fmac_f32_e32 v6, v25, v9
	v_fmac_f32_e32 v19, v9, v22
	;; [unrolled: 1-line block ×3, first 2 shown]
	v_add_co_u32 v9, s0, 0x2800, v2
	v_add_co_ci_u32_e64 v10, s0, 0, v3, s0
	ds_write_b64 v60, v[5:6] offset:2160
	ds_write_b64 v4, v[19:20] offset:30240
	ds_read_b64 v[5:6], v60 offset:3240
	ds_read_b64 v[19:20], v4 offset:29160
	global_load_dwordx2 v[21:22], v[9:10], off offset:560
	s_waitcnt lgkmcnt(0)
	v_add_f32_e32 v25, v5, v19
	v_add_f32_e32 v26, v20, v6
	v_sub_f32_e32 v27, v5, v19
	v_sub_f32_e32 v5, v6, v20
	s_waitcnt vmcnt(7)
	v_fma_f32 v28, v27, v8, v25
	v_fma_f32 v6, v26, v8, v5
	v_fma_f32 v19, -v27, v8, v25
	v_fma_f32 v20, v26, v8, -v5
	v_fma_f32 v5, -v7, v26, v28
	v_fmac_f32_e32 v6, v27, v7
	v_fmac_f32_e32 v19, v7, v26
	;; [unrolled: 1-line block ×3, first 2 shown]
	ds_write_b64 v60, v[5:6] offset:3240
	ds_write_b64 v4, v[19:20] offset:29160
	ds_read_b64 v[5:6], v60 offset:4320
	ds_read_b64 v[7:8], v4 offset:28080
	global_load_dwordx2 v[9:10], v[9:10], off offset:1640
	s_waitcnt lgkmcnt(0)
	v_add_f32_e32 v19, v5, v7
	v_add_f32_e32 v20, v8, v6
	v_sub_f32_e32 v25, v5, v7
	v_sub_f32_e32 v5, v6, v8
	s_waitcnt vmcnt(7)
	v_fma_f32 v26, v25, v14, v19
	v_fma_f32 v6, v20, v14, v5
	v_fma_f32 v7, -v25, v14, v19
	v_fma_f32 v8, v20, v14, -v5
	v_fma_f32 v5, -v13, v20, v26
	v_fmac_f32_e32 v6, v25, v13
	v_fmac_f32_e32 v7, v13, v20
	;; [unrolled: 1-line block ×3, first 2 shown]
	v_add_co_u32 v13, s0, 0x3000, v2
	v_add_co_ci_u32_e64 v14, s0, 0, v3, s0
	ds_write_b64 v60, v[5:6] offset:4320
	ds_write_b64 v4, v[7:8] offset:28080
	ds_read_b64 v[5:6], v60 offset:5400
	ds_read_b64 v[7:8], v4 offset:27000
	v_add_co_u32 v2, s0, 0x3800, v2
	global_load_dwordx2 v[19:20], v[13:14], off offset:672
	v_add_co_ci_u32_e64 v3, s0, 0, v3, s0
	v_cmp_gt_u32_e64 s0, 15, v56
	s_waitcnt lgkmcnt(0)
	v_add_f32_e32 v25, v5, v7
	v_add_f32_e32 v26, v8, v6
	v_sub_f32_e32 v27, v5, v7
	v_sub_f32_e32 v5, v6, v8
	s_waitcnt vmcnt(7)
	v_fma_f32 v28, v27, v12, v25
	v_fma_f32 v6, v26, v12, v5
	v_fma_f32 v7, -v27, v12, v25
	v_fma_f32 v8, v26, v12, -v5
	v_fma_f32 v5, -v11, v26, v28
	v_fmac_f32_e32 v6, v27, v11
	v_fmac_f32_e32 v7, v11, v26
	;; [unrolled: 1-line block ×3, first 2 shown]
	ds_write_b64 v60, v[5:6] offset:5400
	ds_write_b64 v4, v[7:8] offset:27000
	ds_read_b64 v[5:6], v60 offset:6480
	ds_read_b64 v[7:8], v4 offset:25920
	global_load_dwordx2 v[11:12], v[13:14], off offset:1752
	s_waitcnt lgkmcnt(0)
	v_add_f32_e32 v13, v5, v7
	v_add_f32_e32 v14, v8, v6
	v_sub_f32_e32 v25, v5, v7
	v_sub_f32_e32 v5, v6, v8
	s_waitcnt vmcnt(7)
	v_fma_f32 v26, v25, v18, v13
	v_fma_f32 v6, v14, v18, v5
	v_fma_f32 v7, -v25, v18, v13
	v_fma_f32 v8, v14, v18, -v5
	v_fma_f32 v5, -v17, v14, v26
	v_fmac_f32_e32 v6, v25, v17
	v_fmac_f32_e32 v7, v17, v14
	;; [unrolled: 1-line block ×3, first 2 shown]
	ds_write_b64 v60, v[5:6] offset:6480
	ds_write_b64 v4, v[7:8] offset:25920
	ds_read_b64 v[5:6], v60 offset:7560
	ds_read_b64 v[7:8], v4 offset:24840
	global_load_dwordx2 v[13:14], v[2:3], off offset:784
	s_waitcnt lgkmcnt(0)
	v_add_f32_e32 v2, v5, v7
	v_add_f32_e32 v17, v8, v6
	v_sub_f32_e32 v7, v5, v7
	v_sub_f32_e32 v6, v6, v8
	s_waitcnt vmcnt(7)
	v_fma_f32 v8, v7, v16, v2
	v_fma_f32 v3, v17, v16, v6
	v_fma_f32 v5, -v7, v16, v2
	v_fma_f32 v6, v17, v16, -v6
	v_fma_f32 v2, -v15, v17, v8
	v_fmac_f32_e32 v3, v7, v15
	v_fmac_f32_e32 v5, v15, v17
	v_fmac_f32_e32 v6, v7, v15
	ds_write_b64 v60, v[2:3] offset:7560
	ds_write_b64 v4, v[5:6] offset:24840
	ds_read_b64 v[2:3], v60 offset:8640
	ds_read_b64 v[5:6], v4 offset:23760
	s_waitcnt lgkmcnt(0)
	v_add_f32_e32 v7, v2, v5
	v_add_f32_e32 v8, v6, v3
	v_sub_f32_e32 v15, v2, v5
	v_sub_f32_e32 v2, v3, v6
	s_waitcnt vmcnt(6)
	v_fma_f32 v16, v15, v24, v7
	v_fma_f32 v3, v8, v24, v2
	v_fma_f32 v5, -v15, v24, v7
	v_fma_f32 v6, v8, v24, -v2
	v_fma_f32 v2, -v23, v8, v16
	v_fmac_f32_e32 v3, v15, v23
	v_fmac_f32_e32 v5, v23, v8
	v_fmac_f32_e32 v6, v15, v23
	ds_write_b64 v60, v[2:3] offset:8640
	ds_write_b64 v4, v[5:6] offset:23760
	ds_read_b64 v[2:3], v60 offset:9720
	ds_read_b64 v[5:6], v4 offset:22680
	;; [unrolled: 18-line block ×7, first 2 shown]
	s_waitcnt lgkmcnt(0)
	v_add_f32_e32 v5, v0, v2
	v_add_f32_e32 v6, v3, v1
	v_sub_f32_e32 v7, v0, v2
	v_sub_f32_e32 v1, v1, v3
	s_waitcnt vmcnt(0)
	v_fma_f32 v2, v7, v14, v5
	v_fma_f32 v3, v6, v14, v1
	v_fma_f32 v0, -v7, v14, v5
	v_fma_f32 v1, v6, v14, -v1
	v_fma_f32 v2, -v13, v6, v2
	v_fmac_f32_e32 v3, v7, v13
	v_fmac_f32_e32 v0, v13, v6
	v_fmac_f32_e32 v1, v7, v13
	ds_write_b64 v60, v[2:3] offset:15120
	ds_write_b64 v4, v[0:1] offset:17280
	s_waitcnt lgkmcnt(0)
	s_barrier
	buffer_gl0_inv
	s_barrier
	buffer_gl0_inv
	ds_read2_b64 v[23:26], v57 offset0:42 offset1:177
	ds_read2_b64 v[36:39], v63 offset0:84 offset1:219
	;; [unrolled: 1-line block ×4, first 2 shown]
	ds_read2_b64 v[0:3], v60 offset1:135
	ds_read2_b64 v[4:7], v68 offset0:14 offset1:149
	ds_read2_b64 v[90:93], v65 offset0:56 offset1:191
	;; [unrolled: 1-line block ×10, first 2 shown]
	s_waitcnt lgkmcnt(0)
	s_barrier
	buffer_gl0_inv
	v_add_f32_e32 v45, v6, v92
	v_add_f32_e32 v75, v4, v90
	;; [unrolled: 1-line block ×4, first 2 shown]
	v_sub_f32_e32 v51, v26, v39
	v_sub_f32_e32 v80, v39, v26
	;; [unrolled: 1-line block ×3, first 2 shown]
	v_add_f32_e32 v33, v2, v25
	v_add_f32_e32 v41, v0, v23
	;; [unrolled: 1-line block ×6, first 2 shown]
	v_sub_f32_e32 v123, v23, v36
	v_sub_f32_e32 v108, v36, v23
	;; [unrolled: 1-line block ×3, first 2 shown]
	v_add_f32_e32 v33, v33, v38
	v_add_f32_e32 v36, v41, v36
	v_sub_f32_e32 v119, v25, v38
	v_sub_f32_e32 v31, v25, v100
	;; [unrolled: 1-line block ×3, first 2 shown]
	v_add_f32_e32 v52, v25, v100
	v_sub_f32_e32 v25, v37, v87
	v_add_f32_e32 v54, v37, v87
	v_sub_f32_e32 v124, v24, v37
	v_sub_f32_e32 v111, v37, v24
	v_add_f32_e32 v34, v34, v39
	v_add_f32_e32 v37, v43, v37
	v_sub_f32_e32 v127, v98, v86
	v_sub_f32_e32 v116, v86, v98
	v_add_f32_e32 v106, v8, v141
	v_add_f32_e32 v33, v33, v88
	;; [unrolled: 1-line block ×3, first 2 shown]
	v_sub_f32_e32 v126, v99, v87
	v_sub_f32_e32 v117, v87, v99
	v_add_f32_e32 v107, v9, v142
	v_add_f32_e32 v34, v34, v89
	;; [unrolled: 1-line block ×4, first 2 shown]
	v_sub_f32_e32 v20, v38, v88
	v_add_f32_e32 v55, v23, v98
	v_sub_f32_e32 v32, v23, v98
	v_add_f32_e32 v38, v45, v135
	v_add_f32_e32 v36, v33, v100
	;; [unrolled: 1-line block ×7, first 2 shown]
	v_sub_f32_e32 v35, v24, v99
	v_add_f32_e32 v74, v24, v99
	v_add_f32_e32 v37, v34, v101
	;; [unrolled: 1-line block ×5, first 2 shown]
	v_sub_f32_e32 v49, v90, v133
	v_sub_f32_e32 v84, v133, v90
	v_add_f32_e32 v83, v90, v16
	v_sub_f32_e32 v27, v90, v16
	v_add_f32_e32 v41, v46, v136
	v_add_f32_e32 v46, v96, v134
	;; [unrolled: 1-line block ×3, first 2 shown]
	v_sub_f32_e32 v43, v146, v150
	v_add_f32_e32 v90, v38, v139
	v_add_f32_e32 v103, v147, v151
	;; [unrolled: 1-line block ×3, first 2 shown]
	v_fma_f32 v106, -0.5, v106, v8
	v_add_f32_e32 v109, v10, v143
	v_add_f32_e32 v75, v75, v148
	v_sub_f32_e32 v130, v100, v88
	v_add_f32_e32 v47, v39, v89
	v_sub_f32_e32 v21, v39, v89
	v_add_f32_e32 v78, v136, v140
	v_add_f32_e32 v82, v93, v19
	v_add_f32_e32 v97, v146, v150
	v_sub_f32_e32 v39, v145, v149
	v_fma_f32 v107, -0.5, v107, v9
	v_sub_f32_e32 v85, v91, v134
	v_sub_f32_e32 v104, v134, v91
	v_add_f32_e32 v81, v92, v18
	v_sub_f32_e32 v40, v92, v18
	v_sub_f32_e32 v28, v91, v17
	v_add_f32_e32 v154, v91, v17
	;; [unrolled: 3-line block ×3, first 2 shown]
	v_sub_f32_e32 v86, v142, v13
	v_fma_f32 v110, -0.5, v110, v10
	v_fma_f32 v96, -0.5, v96, v8
	;; [unrolled: 1-line block ×7, first 2 shown]
	v_add_f32_e32 v18, v90, v18
	v_fmamk_f32 v90, v43, 0xbf737871, v106
	v_fmac_f32_e32 v106, 0x3f737871, v43
	v_sub_f32_e32 v122, v101, v89
	v_sub_f32_e32 v121, v88, v100
	;; [unrolled: 1-line block ×3, first 2 shown]
	v_add_f32_e32 v76, v135, v139
	v_sub_f32_e32 v129, v93, v136
	v_sub_f32_e32 v48, v136, v93
	;; [unrolled: 1-line block ×3, first 2 shown]
	v_add_f32_e32 v93, v46, v138
	v_add_f32_e32 v100, v109, v147
	;; [unrolled: 1-line block ×3, first 2 shown]
	v_fma_f32 v44, -0.5, v53, v0
	v_sub_f32_e32 v23, v134, v138
	v_add_f32_e32 v153, v134, v138
	v_sub_f32_e32 v94, v17, v138
	v_sub_f32_e32 v155, v138, v17
	;; [unrolled: 1-line block ×4, first 2 shown]
	v_fma_f32 v47, -0.5, v47, v3
	v_fmac_f32_e32 v3, -0.5, v77
	v_add_nc_u32_e32 v77, 0x87, v56
	v_add_f32_e32 v130, v119, v130
	v_mov_b32_e32 v119, 0xcccd
	v_add_f32_e32 v79, v133, v137
	v_sub_f32_e32 v105, v143, v147
	v_sub_f32_e32 v88, v141, v12
	v_add_f32_e32 v98, v98, v149
	v_sub_f32_e32 v120, v14, v151
	v_fma_f32 v97, -0.5, v97, v9
	v_fma_f32 v53, -0.5, v55, v0
	;; [unrolled: 1-line block ×4, first 2 shown]
	v_fmamk_f32 v82, v39, 0x3f737871, v107
	v_fmac_f32_e32 v107, 0xbf737871, v39
	v_sub_f32_e32 v128, v92, v135
	v_sub_f32_e32 v118, v135, v92
	;; [unrolled: 1-line block ×8, first 2 shown]
	v_add_f32_e32 v92, v45, v137
	v_sub_f32_e32 v87, v147, v143
	v_add_f32_e32 v89, v148, v152
	v_sub_f32_e32 v102, v144, v148
	;; [unrolled: 2-line block ×3, first 2 shown]
	v_sub_f32_e32 v109, v15, v152
	v_add_f32_e32 v19, v91, v19
	v_fmamk_f32 v91, v86, 0x3f737871, v96
	v_fmac_f32_e32 v96, 0xbf737871, v86
	v_fmac_f32_e32 v106, 0xbf167918, v86
	;; [unrolled: 1-line block ×3, first 2 shown]
	v_fmamk_f32 v86, v26, 0x3f737871, v54
	v_fmac_f32_e32 v54, 0xbf737871, v26
	v_add_f32_e32 v99, v99, v150
	v_add_f32_e32 v100, v100, v151
	v_fma_f32 v55, -0.5, v76, v6
	v_add_f32_e32 v17, v93, v17
	v_add_f32_e32 v93, v101, v15
	v_fmamk_f32 v101, v35, 0x3f737871, v44
	v_fmac_f32_e32 v44, 0xbf737871, v35
	v_sub_f32_e32 v38, v148, v152
	v_add_f32_e32 v134, v134, v138
	v_mul_u32_u24_sdwa v138, v77, v119 dst_sel:DWORD dst_unused:UNUSED_PAD src0_sel:WORD_0 src1_sel:DWORD
	v_sub_f32_e32 v30, v136, v140
	v_add_f32_e32 v105, v105, v120
	v_fma_f32 v76, -0.5, v81, v6
	v_fma_f32 v120, -0.5, v79, v4
	;; [unrolled: 1-line block ×3, first 2 shown]
	v_fmamk_f32 v83, v20, 0x3f737871, v3
	v_fmac_f32_e32 v3, 0xbf737871, v20
	v_add_f32_e32 v6, v98, v12
	v_fmamk_f32 v98, v88, 0xbf737871, v97
	v_fmac_f32_e32 v97, 0x3f737871, v88
	v_fmac_f32_e32 v107, 0x3f167918, v88
	v_fmac_f32_e32 v82, 0xbf167918, v88
	v_fmamk_f32 v88, v25, 0xbf737871, v53
	v_fmac_f32_e32 v53, 0x3f737871, v25
	v_sub_f32_e32 v41, v147, v151
	v_add_f32_e32 v87, v87, v75
	v_fma_f32 v75, -0.5, v89, v11
	v_fmac_f32_e32 v11, -0.5, v137
	v_add_f32_e32 v4, v102, v109
	v_fmamk_f32 v102, v32, 0xbf737871, v52
	v_fmac_f32_e32 v52, 0x3f737871, v32
	v_fmac_f32_e32 v86, 0xbf167918, v32
	;; [unrolled: 1-line block ×3, first 2 shown]
	v_fmamk_f32 v32, v29, 0x3f737871, v78
	v_fmac_f32_e32 v78, 0xbf737871, v29
	v_sub_f32_e32 v135, v142, v146
	v_sub_f32_e32 v133, v145, v141
	;; [unrolled: 1-line block ×8, first 2 shown]
	v_add_f32_e32 v16, v92, v16
	v_add_f32_e32 v7, v99, v13
	;; [unrolled: 1-line block ×3, first 2 shown]
	v_fmamk_f32 v99, v31, 0xbf737871, v47
	v_fmamk_f32 v100, v42, 0x3f737871, v55
	v_fmac_f32_e32 v47, 0x3f737871, v31
	v_fmac_f32_e32 v55, 0xbf737871, v42
	;; [unrolled: 1-line block ×4, first 2 shown]
	v_fmamk_f32 v25, v22, 0x3f737871, v103
	v_fmac_f32_e32 v103, 0xbf737871, v22
	v_sub_f32_e32 v141, v150, v13
	v_add_f32_e32 v121, v50, v121
	v_lshrrev_b32_e32 v50, 19, v138
	v_fmamk_f32 v81, v38, 0xbf737871, v110
	v_fmac_f32_e32 v110, 0x3f737871, v38
	v_sub_f32_e32 v139, v13, v150
	v_fmac_f32_e32 v3, 0x3f167918, v31
	v_fmac_f32_e32 v83, 0xbf167918, v31
	;; [unrolled: 1-line block ×4, first 2 shown]
	v_fmamk_f32 v31, v30, 0xbf737871, v76
	v_fmac_f32_e32 v76, 0x3f737871, v30
	v_fmamk_f32 v35, v40, 0xbf737871, v74
	v_fmac_f32_e32 v74, 0x3f737871, v40
	v_fmac_f32_e32 v32, 0xbf167918, v40
	;; [unrolled: 1-line block ×3, first 2 shown]
	v_fmamk_f32 v40, v41, 0x3f737871, v11
	v_fmac_f32_e32 v11, 0xbf737871, v41
	v_add_f32_e32 v89, v113, v142
	v_add_f32_e32 v113, v80, v112
	;; [unrolled: 1-line block ×3, first 2 shown]
	v_fma_f32 v133, -0.5, v153, v5
	v_fmac_f32_e32 v100, 0x3f167918, v30
	v_fmac_f32_e32 v55, 0xbf167918, v30
	v_fmamk_f32 v30, v21, 0xbf737871, v2
	v_fmac_f32_e32 v2, 0x3f737871, v21
	v_fmac_f32_e32 v91, 0x3f167918, v43
	;; [unrolled: 1-line block ×4, first 2 shown]
	v_fmamk_f32 v21, v46, 0x3f737871, v10
	v_fmac_f32_e32 v10, 0xbf737871, v46
	v_fmac_f32_e32 v99, 0xbf167918, v20
	;; [unrolled: 1-line block ×3, first 2 shown]
	v_fmamk_f32 v20, v45, 0xbf737871, v75
	v_fmac_f32_e32 v75, 0x3f737871, v45
	v_add_f32_e32 v136, v136, v141
	v_add_f32_e32 v118, v118, v125
	v_mul_lo_u16 v125, v50, 10
	v_add_f32_e32 v115, v48, v115
	v_fmac_f32_e32 v110, 0xbf167918, v46
	v_add_f32_e32 v135, v135, v139
	v_add_f32_e32 v129, v129, v131
	v_fmac_f32_e32 v76, 0xbf167918, v42
	v_fmac_f32_e32 v74, 0x3f167918, v29
	;; [unrolled: 1-line block ×4, first 2 shown]
	v_fmac_f32_e32 v5, -0.5, v154
	v_add_f32_e32 v128, v128, v132
	v_fmac_f32_e32 v11, 0x3f167918, v45
	v_fmac_f32_e32 v81, 0x3f167918, v46
	;; [unrolled: 1-line block ×3, first 2 shown]
	v_fmamk_f32 v143, v23, 0xbf737871, v79
	v_fmac_f32_e32 v79, 0x3f737871, v23
	v_fmamk_f32 v144, v27, 0xbf737871, v133
	v_fmac_f32_e32 v133, 0x3f737871, v27
	v_fmac_f32_e32 v98, 0xbf167918, v39
	;; [unrolled: 1-line block ×7, first 2 shown]
	v_add_f32_e32 v114, v49, v114
	v_sub_nc_u16 v49, v77, v125
	v_fmamk_f32 v125, v28, 0x3f737871, v120
	v_fmac_f32_e32 v120, 0xbf737871, v28
	v_fmac_f32_e32 v20, 0xbf167918, v41
	;; [unrolled: 1-line block ×12, first 2 shown]
	v_fmamk_f32 v109, v24, 0x3f737871, v5
	v_fmac_f32_e32 v5, 0xbf737871, v24
	v_fmac_f32_e32 v35, 0xbf167918, v29
	;; [unrolled: 1-line block ×5, first 2 shown]
	v_mul_u32_u24_e32 v137, 10, v56
	v_add_f32_e32 v122, v51, v122
	v_add_f32_e32 v84, v84, v95
	;; [unrolled: 1-line block ×3, first 2 shown]
	v_fmac_f32_e32 v102, 0xbf167918, v26
	v_fmac_f32_e32 v52, 0x3f167918, v26
	;; [unrolled: 1-line block ×14, first 2 shown]
	v_mul_f32_e32 v24, 0x3f4f1bbd, v91
	v_mul_f32_e32 v26, 0xbf167918, v91
	v_fmac_f32_e32 v30, 0x3f167918, v22
	v_fmac_f32_e32 v2, 0xbf167918, v22
	;; [unrolled: 1-line block ×4, first 2 shown]
	v_add_f32_e32 v9, v34, v19
	v_sub_f32_e32 v13, v34, v19
	v_fmac_f32_e32 v20, 0x3e9e377a, v4
	v_mul_f32_e32 v4, 0x3e9e377a, v110
	v_mul_f32_e32 v19, 0x3e9e377a, v107
	;; [unrolled: 1-line block ×6, first 2 shown]
	v_add_f32_e32 v124, v124, v126
	v_add_f32_e32 v108, v108, v116
	v_mul_f32_e32 v22, 0x3e9e377a, v76
	v_mul_f32_e32 v38, 0x3f4f1bbd, v74
	;; [unrolled: 1-line block ×4, first 2 shown]
	v_add_f32_e32 v140, v104, v155
	v_add_f32_e32 v123, v123, v127
	v_fmac_f32_e32 v5, 0x3f167918, v27
	v_fmac_f32_e32 v109, 0xbf167918, v27
	v_add_f32_e32 v8, v33, v18
	v_sub_f32_e32 v12, v33, v18
	v_fmac_f32_e32 v35, 0x3e9e377a, v129
	v_mul_f32_e32 v18, 0x3e9e377a, v11
	v_mul_f32_e32 v33, 0x3f4f1bbd, v100
	;; [unrolled: 1-line block ×4, first 2 shown]
	v_lshl_add_u32 v137, v137, 3, 0
	v_add_f32_e32 v111, v111, v117
	v_add_f32_e32 v0, v36, v6
	;; [unrolled: 1-line block ×3, first 2 shown]
	v_sub_f32_e32 v6, v36, v6
	v_sub_f32_e32 v7, v37, v7
	v_fmac_f32_e32 v25, 0x3e9e377a, v130
	v_fmac_f32_e32 v99, 0x3e9e377a, v122
	;; [unrolled: 1-line block ×6, first 2 shown]
	v_mul_f32_e32 v36, 0x3f737871, v32
	v_mul_f32_e32 v37, 0xbf737871, v31
	;; [unrolled: 1-line block ×8, first 2 shown]
	v_fmac_f32_e32 v24, 0x3f167918, v98
	v_fmac_f32_e32 v26, 0x3f4f1bbd, v98
	;; [unrolled: 1-line block ×6, first 2 shown]
	v_fma_f32 v91, 0x3f737871, v11, -v4
	v_fma_f32 v11, 0xbf737871, v106, -v19
	v_fmac_f32_e32 v28, 0x3e9e377a, v90
	v_fmac_f32_e32 v29, 0x3e9e377a, v82
	v_fma_f32 v46, 0xbf737871, v76, -v23
	v_fma_f32 v76, 0x3f737871, v107, -v39
	v_fmac_f32_e32 v53, 0x3e9e377a, v108
	v_fmac_f32_e32 v52, 0x3e9e377a, v124
	v_fmac_f32_e32 v103, 0x3e9e377a, v130
	v_fmac_f32_e32 v47, 0x3e9e377a, v122
	v_fma_f32 v45, 0x3f737871, v78, -v22
	v_fma_f32 v55, 0xbf167918, v55, -v38
	;; [unrolled: 1-line block ×4, first 2 shown]
	v_fmac_f32_e32 v5, 0x3e9e377a, v140
	v_fmac_f32_e32 v101, 0x3e9e377a, v123
	;; [unrolled: 1-line block ×4, first 2 shown]
	v_fma_f32 v18, 0xbf737871, v110, -v18
	v_fmac_f32_e32 v33, 0x3f167918, v35
	v_fmac_f32_e32 v34, 0x3f4f1bbd, v35
	;; [unrolled: 1-line block ×3, first 2 shown]
	v_add_nc_u32_e32 v139, 0x2a30, v137
	v_add_f32_e32 v14, v16, v92
	v_sub_f32_e32 v16, v16, v92
	v_fmac_f32_e32 v88, 0x3e9e377a, v108
	v_fmac_f32_e32 v86, 0x3e9e377a, v111
	v_fmac_f32_e32 v54, 0x3e9e377a, v111
	v_fmac_f32_e32 v44, 0x3e9e377a, v123
	v_fmac_f32_e32 v125, 0x3e9e377a, v114
	v_fmac_f32_e32 v120, 0x3e9e377a, v114
	v_fmac_f32_e32 v36, 0x3e9e377a, v31
	v_fmac_f32_e32 v37, 0x3e9e377a, v32
	v_fma_f32 v74, 0x3f167918, v74, -v27
	v_fmac_f32_e32 v84, 0x3e9e377a, v81
	v_fma_f32 v90, 0x3f167918, v75, -v43
	v_fmac_f32_e32 v85, 0x3f167918, v20
	v_fmac_f32_e32 v87, 0x3f4f1bbd, v20
	v_fma_f32 v92, 0xbf167918, v10, -v21
	v_add_f32_e32 v22, v25, v24
	v_add_f32_e32 v23, v99, v26
	v_add_nc_u32_e32 v141, 0x2a40, v137
	v_add_f32_e32 v4, v3, v11
	v_sub_f32_e32 v11, v3, v11
	v_sub_f32_e32 v24, v25, v24
	;; [unrolled: 1-line block ×3, first 2 shown]
	v_add_f32_e32 v26, v30, v28
	v_add_f32_e32 v27, v83, v29
	v_add_f32_e32 v3, v2, v76
	v_add_nc_u32_e32 v127, 0x2a50, v137
	v_add_f32_e32 v38, v53, v45
	v_sub_f32_e32 v40, v53, v45
	v_add_f32_e32 v43, v52, v55
	v_sub_f32_e32 v45, v52, v55
	v_add_f32_e32 v52, v103, v78
	v_add_f32_e32 v53, v47, v82
	v_add_nc_u32_e32 v126, 0x2a60, v137
	v_sub_f32_e32 v28, v30, v28
	v_sub_f32_e32 v29, v83, v29
	v_add_f32_e32 v19, v5, v18
	v_sub_f32_e32 v21, v5, v18
	v_add_f32_e32 v30, v101, v33
	v_add_f32_e32 v31, v102, v34
	;; [unrolled: 1-line block ×3, first 2 shown]
	v_sub_f32_e32 v20, v79, v91
	v_add_f32_e32 v79, v109, v89
	v_add_nc_u32_e32 v132, 0x2a70, v137
	v_add_nc_u32_e32 v131, 0x5460, v137
	;; [unrolled: 1-line block ×6, first 2 shown]
	v_add_f32_e32 v15, v17, v93
	v_sub_f32_e32 v17, v17, v93
	v_sub_f32_e32 v32, v101, v33
	;; [unrolled: 1-line block ×3, first 2 shown]
	v_add_f32_e32 v34, v88, v36
	v_add_f32_e32 v35, v86, v37
	v_sub_f32_e32 v36, v88, v36
	v_sub_f32_e32 v37, v86, v37
	v_add_f32_e32 v39, v54, v46
	v_sub_f32_e32 v41, v54, v46
	v_add_f32_e32 v42, v44, v74
	v_sub_f32_e32 v44, v44, v74
	v_sub_f32_e32 v10, v2, v76
	;; [unrolled: 1-line block ×4, first 2 shown]
	v_add_f32_e32 v54, v125, v85
	v_add_f32_e32 v55, v144, v87
	v_sub_f32_e32 v74, v125, v85
	v_sub_f32_e32 v75, v144, v87
	v_add_f32_e32 v78, v143, v84
	v_sub_f32_e32 v81, v143, v84
	v_sub_f32_e32 v82, v109, v89
	v_add_f32_e32 v83, v120, v90
	v_add_f32_e32 v84, v133, v92
	v_sub_f32_e32 v85, v120, v90
	v_sub_f32_e32 v86, v133, v92
	ds_write2_b64 v139, v[0:1], v[22:23] offset1:1
	ds_write2_b64 v141, v[26:27], v[3:4] offset1:1
	ds_write2_b64 v127, v[52:53], v[6:7] offset1:1
	ds_write2_b64 v126, v[24:25], v[28:29] offset1:1
	ds_write2_b64 v137, v[8:9], v[30:31] offset1:1
	ds_write2_b64 v137, v[34:35], v[38:39] offset0:2 offset1:3
	ds_write2_b64 v137, v[42:43], v[12:13] offset0:4 offset1:5
	;; [unrolled: 1-line block ×4, first 2 shown]
	ds_write2_b64 v132, v[10:11], v[46:47] offset1:1
	ds_write2_b64 v131, v[14:15], v[54:55] offset1:1
	;; [unrolled: 1-line block ×6, first 2 shown]
	v_add_nc_u32_e32 v79, 0x10e, v56
	v_and_b32_e32 v80, 0xff, v56
	v_add_nc_u32_e32 v74, 0x195, v56
	v_add_nc_u32_e32 v76, 0x21c, v56
	v_mov_b32_e32 v104, 5
	v_mul_u32_u24_sdwa v8, v79, v119 dst_sel:DWORD dst_unused:UNUSED_PAD src0_sel:WORD_0 src1_sel:DWORD
	v_mul_lo_u16 v51, 0xcd, v80
	v_add_nc_u32_e32 v75, 0x2a3, v56
	s_waitcnt lgkmcnt(0)
	s_barrier
	v_lshrrev_b32_e32 v55, 19, v8
	v_mul_u32_u24_sdwa v8, v74, v119 dst_sel:DWORD dst_unused:UNUSED_PAD src0_sel:WORD_0 src1_sel:DWORD
	v_lshrrev_b16 v51, 11, v51
	buffer_gl0_inv
	v_mov_b32_e32 v85, 0x190
	v_mul_lo_u16 v9, v55, 10
	v_lshrrev_b32_e32 v53, 19, v8
	v_mul_lo_u16 v117, v51, 10
	v_mov_b32_e32 v78, 3
	v_mul_u32_u24_sdwa v51, v51, v85 dst_sel:DWORD dst_unused:UNUSED_PAD src0_sel:WORD_0 src1_sel:DWORD
	v_sub_nc_u16 v52, v79, v9
	v_mul_lo_u16 v16, v53, 10
	v_sub_nc_u16 v48, v56, v117
	v_lshlrev_b32_sdwa v117, v104, v49 dst_sel:DWORD dst_unused:UNUSED_PAD src0_sel:DWORD src1_sel:WORD_0
	v_mul_u32_u24_e32 v50, 0x190, v50
	v_lshlrev_b32_sdwa v17, v104, v52 dst_sel:DWORD dst_unused:UNUSED_PAD src0_sel:DWORD src1_sel:WORD_0
	v_sub_nc_u16 v54, v74, v16
	v_mul_u32_u24_sdwa v16, v76, v119 dst_sel:DWORD dst_unused:UNUSED_PAD src0_sel:WORD_0 src1_sel:DWORD
	v_lshlrev_b32_sdwa v94, v104, v48 dst_sel:DWORD dst_unused:UNUSED_PAD src0_sel:DWORD src1_sel:BYTE_0
	s_clause 0x3
	global_load_dwordx4 v[0:3], v117, s[8:9]
	global_load_dwordx4 v[8:11], v117, s[8:9] offset:16
	global_load_dwordx4 v[36:39], v17, s[8:9]
	global_load_dwordx4 v[24:27], v17, s[8:9] offset:16
	v_lshrrev_b32_e32 v83, 19, v16
	v_mul_u32_u24_sdwa v16, v75, v119 dst_sel:DWORD dst_unused:UNUSED_PAD src0_sel:WORD_0 src1_sel:DWORD
	s_clause 0x1
	global_load_dwordx4 v[4:7], v94, s[8:9]
	global_load_dwordx4 v[12:15], v94, s[8:9] offset:16
	v_lshlrev_b32_sdwa v18, v104, v54 dst_sel:DWORD dst_unused:UNUSED_PAD src0_sel:DWORD src1_sel:WORD_0
	v_mul_lo_u16 v19, v83, 10
	v_lshrrev_b32_e32 v81, 19, v16
	v_mul_u32_u24_e32 v55, 0x190, v55
	v_lshlrev_b32_sdwa v48, v78, v48 dst_sel:DWORD dst_unused:UNUSED_PAD src0_sel:DWORD src1_sel:BYTE_0
	s_clause 0x1
	global_load_dwordx4 v[40:43], v18, s[8:9]
	global_load_dwordx4 v[28:31], v18, s[8:9] offset:16
	v_mul_lo_u16 v16, v81, 10
	v_sub_nc_u16 v84, v76, v19
	v_lshlrev_b32_sdwa v49, v78, v49 dst_sel:DWORD dst_unused:UNUSED_PAD src0_sel:DWORD src1_sel:WORD_0
	v_lshlrev_b32_sdwa v52, v78, v52 dst_sel:DWORD dst_unused:UNUSED_PAD src0_sel:DWORD src1_sel:WORD_0
	v_add3_u32 v88, 0, v51, v48
	v_sub_nc_u16 v82, v75, v16
	v_lshlrev_b32_sdwa v32, v104, v84 dst_sel:DWORD dst_unused:UNUSED_PAD src0_sel:DWORD src1_sel:WORD_0
	v_add3_u32 v87, 0, v50, v49
	v_add3_u32 v86, 0, v55, v52
	v_mul_u32_u24_e32 v53, 0x190, v53
	v_lshlrev_b32_sdwa v44, v104, v82 dst_sel:DWORD dst_unused:UNUSED_PAD src0_sel:DWORD src1_sel:WORD_0
	s_clause 0x3
	global_load_dwordx4 v[20:23], v32, s[8:9]
	global_load_dwordx4 v[16:19], v44, s[8:9]
	global_load_dwordx4 v[32:35], v32, s[8:9] offset:16
	global_load_dwordx4 v[44:47], v44, s[8:9] offset:16
	ds_read2_b64 v[89:92], v57 offset0:42 offset1:177
	ds_read2_b64 v[93:96], v63 offset0:84 offset1:219
	;; [unrolled: 1-line block ×12, first 2 shown]
	ds_read2_b64 v[48:51], v60 offset1:135
	v_lshlrev_b32_sdwa v54, v78, v54 dst_sel:DWORD dst_unused:UNUSED_PAD src0_sel:DWORD src1_sel:WORD_0
	v_add3_u32 v85, 0, v53, v54
	s_waitcnt vmcnt(11) lgkmcnt(12)
	v_mul_f32_e32 v139, v91, v1
	s_waitcnt vmcnt(10) lgkmcnt(9)
	v_mul_f32_e32 v140, v103, v11
	v_fmac_f32_e32 v139, v92, v0
	s_waitcnt vmcnt(7)
	v_mul_f32_e32 v52, v5, v90
	v_mul_f32_e32 v137, v5, v89
	;; [unrolled: 1-line block ×5, first 2 shown]
	v_fma_f32 v89, v4, v89, -v52
	v_fmac_f32_e32 v137, v4, v90
	v_fma_f32 v90, v93, v6, -v5
	ds_read2_b64 v[52:55], v68 offset0:14 offset1:149
	v_fma_f32 v91, v91, v0, -v7
	v_mul_f32_e32 v0, v96, v3
	v_mul_f32_e32 v92, v95, v3
	v_fmac_f32_e32 v138, v94, v6
	s_waitcnt vmcnt(6)
	v_mul_f32_e32 v94, v97, v13
	v_mul_f32_e32 v1, v102, v15
	v_fma_f32 v93, v95, v2, -v0
	v_mul_f32_e32 v0, v98, v13
	v_fmac_f32_e32 v92, v96, v2
	v_mul_f32_e32 v95, v101, v15
	v_mul_f32_e32 v2, v100, v9
	;; [unrolled: 1-line block ×4, first 2 shown]
	v_fma_f32 v97, v97, v12, -v0
	s_waitcnt lgkmcnt(9)
	v_mul_f32_e32 v0, v106, v37
	v_mul_f32_e32 v15, v105, v37
	v_fmac_f32_e32 v94, v98, v12
	v_fma_f32 v98, v101, v14, -v1
	s_waitcnt lgkmcnt(8)
	v_mul_f32_e32 v1, v110, v39
	v_mul_f32_e32 v37, v109, v39
	ds_read2_b64 v[4:7], v72 offset0:28 offset1:163
	v_fmac_f32_e32 v95, v102, v14
	v_fma_f32 v39, v99, v8, -v2
	v_fmac_f32_e32 v96, v100, v8
	s_waitcnt vmcnt(5)
	v_mul_f32_e32 v2, v108, v41
	v_mul_f32_e32 v41, v107, v41
	;; [unrolled: 1-line block ×4, first 2 shown]
	v_fma_f32 v99, v103, v10, -v3
	v_fmac_f32_e32 v140, v104, v10
	s_waitcnt lgkmcnt(8)
	v_mul_f32_e32 v9, v114, v25
	v_mul_f32_e32 v100, v113, v25
	s_waitcnt lgkmcnt(7)
	v_mul_f32_e32 v10, v118, v27
	v_mul_f32_e32 v101, v117, v27
	s_waitcnt vmcnt(4)
	v_mul_f32_e32 v25, v120, v31
	v_mul_f32_e32 v103, v119, v31
	v_fma_f32 v27, v105, v36, -v0
	v_fmac_f32_e32 v15, v106, v36
	s_waitcnt vmcnt(3) lgkmcnt(6)
	v_mul_f32_e32 v31, v122, v21
	v_mul_f32_e32 v12, v121, v21
	s_waitcnt lgkmcnt(5)
	v_mul_f32_e32 v21, v126, v23
	v_mul_f32_e32 v13, v125, v23
	s_waitcnt vmcnt(2)
	v_mul_f32_e32 v36, v124, v17
	v_mul_f32_e32 v0, v123, v17
	;; [unrolled: 1-line block ×5, first 2 shown]
	v_fma_f32 v29, v109, v38, -v1
	v_fmac_f32_e32 v37, v110, v38
	s_waitcnt vmcnt(1) lgkmcnt(4)
	v_mul_f32_e32 v38, v130, v33
	v_mul_f32_e32 v14, v129, v33
	s_waitcnt lgkmcnt(3)
	v_mul_f32_e32 v33, v134, v35
	v_fma_f32 v23, v107, v40, -v2
	v_fmac_f32_e32 v41, v108, v40
	v_mul_f32_e32 v1, v127, v19
	v_fma_f32 v19, v111, v42, -v8
	v_fmac_f32_e32 v43, v112, v42
	v_mul_f32_e32 v104, v133, v35
	s_waitcnt vmcnt(0)
	v_mul_f32_e32 v35, v132, v45
	v_mul_f32_e32 v2, v131, v45
	;; [unrolled: 1-line block ×4, first 2 shown]
	v_fma_f32 v42, v113, v24, -v9
	v_fma_f32 v106, v121, v20, -v31
	v_fmac_f32_e32 v12, v122, v20
	v_fma_f32 v107, v125, v22, -v21
	v_fmac_f32_e32 v13, v126, v22
	;; [unrolled: 2-line block ×3, first 2 shown]
	v_fma_f32 v9, v127, v18, -v17
	v_sub_f32_e32 v16, v89, v90
	v_sub_f32_e32 v17, v98, v97
	v_add_f32_e32 v20, v138, v94
	v_sub_f32_e32 v21, v137, v138
	v_sub_f32_e32 v22, v95, v94
	v_fma_f32 v45, v117, v26, -v10
	v_fma_f32 v47, v115, v28, -v11
	;; [unrolled: 1-line block ×4, first 2 shown]
	v_sub_f32_e32 v31, v138, v137
	v_sub_f32_e32 v33, v94, v95
	v_fmac_f32_e32 v100, v114, v24
	v_fmac_f32_e32 v101, v118, v26
	;; [unrolled: 1-line block ×5, first 2 shown]
	v_fma_f32 v108, v129, v32, -v38
	v_fmac_f32_e32 v14, v130, v32
	v_fmac_f32_e32 v104, v134, v34
	v_fma_f32 v10, v131, v44, -v35
	v_fmac_f32_e32 v2, v132, v44
	v_fma_f32 v11, v135, v46, -v40
	v_fmac_f32_e32 v3, v136, v46
	v_add_f32_e32 v18, v90, v97
	v_sub_f32_e32 v26, v90, v89
	v_sub_f32_e32 v28, v97, v98
	v_add_f32_e32 v30, v89, v98
	v_add_f32_e32 v32, v137, v95
	;; [unrolled: 1-line block ×4, first 2 shown]
	s_waitcnt lgkmcnt(2)
	v_add_f32_e32 v38, v50, v91
	v_add_f32_e32 v40, v51, v139
	v_sub_f32_e32 v44, v93, v91
	v_sub_f32_e32 v46, v39, v99
	s_waitcnt lgkmcnt(1)
	v_add_f32_e32 v123, v52, v27
	v_add_f32_e32 v124, v53, v15
	;; [unrolled: 1-line block ×3, first 2 shown]
	v_fma_f32 v16, -0.5, v20, v49
	v_add_f32_e32 v20, v54, v23
	v_add_f32_e32 v143, v21, v22
	;; [unrolled: 1-line block ×4, first 2 shown]
	v_sub_f32_e32 v118, v139, v92
	v_sub_f32_e32 v122, v140, v96
	;; [unrolled: 1-line block ×6, first 2 shown]
	v_add_f32_e32 v27, v27, v45
	v_sub_f32_e32 v145, v19, v23
	v_add_f32_e32 v148, v31, v33
	v_sub_f32_e32 v31, v47, v105
	;; [unrolled: 2-line block ×3, first 2 shown]
	v_add_f32_e32 v89, v92, v96
	v_add_f32_e32 v119, v139, v140
	v_sub_f32_e32 v36, v137, v95
	v_sub_f32_e32 v113, v92, v139
	;; [unrolled: 1-line block ×3, first 2 shown]
	v_add_f32_e32 v132, v37, v100
	v_sub_f32_e32 v133, v15, v37
	v_sub_f32_e32 v134, v37, v100
	;; [unrolled: 1-line block ×4, first 2 shown]
	v_add_f32_e32 v137, v15, v101
	v_fma_f32 v15, -0.5, v18, v48
	v_add_f32_e32 v144, v19, v47
	v_add_f32_e32 v146, v26, v28
	v_fma_f32 v17, -0.5, v30, v48
	v_fma_f32 v18, -0.5, v32, v49
	v_sub_f32_e32 v147, v19, v47
	v_sub_f32_e32 v28, v23, v19
	v_add_f32_e32 v30, v38, v93
	v_add_f32_e32 v32, v40, v92
	;; [unrolled: 1-line block ×6, first 2 shown]
	v_fma_f32 v19, -0.5, v34, v50
	v_fma_f32 v50, -0.5, v35, v50
	v_sub_f32_e32 v34, v43, v41
	v_add_f32_e32 v92, v44, v46
	v_sub_f32_e32 v123, v43, v102
	v_add_f32_e32 v35, v21, v43
	;; [unrolled: 2-line block ×3, first 2 shown]
	v_sub_f32_e32 v124, v41, v103
	v_sub_f32_e32 v41, v102, v103
	;; [unrolled: 1-line block ×5, first 2 shown]
	v_add_f32_e32 v126, v29, v42
	v_sub_f32_e32 v127, v29, v42
	v_sub_f32_e32 v129, v45, v42
	v_sub_f32_e32 v141, v100, v101
	v_add_f32_e32 v138, v25, v138
	v_add_f32_e32 v26, v23, v105
	v_sub_f32_e32 v93, v23, v105
	v_sub_f32_e32 v29, v105, v47
	;; [unrolled: 1-line block ×3, first 2 shown]
	v_add_f32_e32 v118, v118, v122
	v_add_f32_e32 v122, v128, v130
	v_fma_f32 v23, -0.5, v27, v52
	v_add_f32_e32 v27, v107, v108
	v_add_f32_e32 v128, v145, v31
	;; [unrolled: 1-line block ×3, first 2 shown]
	v_sub_f32_e32 v112, v90, v97
	v_fma_f32 v20, -0.5, v89, v51
	v_fmac_f32_e32 v51, -0.5, v119
	v_sub_f32_e32 v116, v91, v99
	v_sub_f32_e32 v120, v139, v140
	v_add_f32_e32 v130, v34, v41
	s_waitcnt lgkmcnt(0)
	v_add_f32_e32 v34, v5, v12
	v_add_f32_e32 v90, v24, v90
	v_sub_f32_e32 v48, v106, v107
	v_sub_f32_e32 v49, v109, v108
	v_add_f32_e32 v119, v125, v129
	v_fma_f32 v21, -0.5, v126, v52
	v_fma_f32 v22, -0.5, v132, v53
	;; [unrolled: 1-line block ×3, first 2 shown]
	v_add_f32_e32 v125, v135, v141
	v_fma_f32 v25, -0.5, v144, v54
	v_fma_f32 v54, -0.5, v26, v54
	;; [unrolled: 1-line block ×3, first 2 shown]
	v_fmac_f32_e32 v55, -0.5, v44
	v_add_f32_e32 v38, v4, v106
	v_add_f32_e32 v132, v28, v29
	;; [unrolled: 1-line block ×3, first 2 shown]
	v_fma_f32 v27, -0.5, v27, v4
	v_fma_f32 v4, -0.5, v31, v4
	v_fmamk_f32 v28, v111, 0xbf737871, v17
	v_fmac_f32_e32 v17, 0x3f737871, v111
	v_add_f32_e32 v41, v138, v94
	v_add_f32_e32 v43, v30, v39
	v_fmamk_f32 v30, v36, 0x3f737871, v15
	v_fmamk_f32 v31, v110, 0xbf737871, v16
	v_add_f32_e32 v44, v32, v96
	v_add_f32_e32 v46, v33, v42
	v_fmamk_f32 v29, v112, 0x3f737871, v18
	v_fmac_f32_e32 v18, 0xbf737871, v112
	v_fmac_f32_e32 v15, 0xbf737871, v36
	;; [unrolled: 1-line block ×3, first 2 shown]
	v_sub_f32_e32 v121, v96, v140
	v_fmamk_f32 v32, v117, 0xbf737871, v50
	v_fmac_f32_e32 v50, 0x3f737871, v117
	v_fmamk_f32 v33, v114, 0x3f737871, v51
	v_fmac_f32_e32 v51, 0xbf737871, v114
	v_sub_f32_e32 v91, v99, v39
	v_add_f32_e32 v144, v34, v13
	v_add_f32_e32 v53, v35, v102
	v_fmamk_f32 v34, v120, 0x3f737871, v19
	v_fmamk_f32 v35, v116, 0xbf737871, v20
	v_fmac_f32_e32 v20, 0x3f737871, v116
	v_sub_f32_e32 v139, v101, v100
	v_add_f32_e32 v137, v48, v49
	v_add_f32_e32 v141, v38, v107
	;; [unrolled: 1-line block ×5, first 2 shown]
	v_fmac_f32_e32 v19, 0xbf737871, v120
	v_fmac_f32_e32 v28, 0x3f167918, v36
	;; [unrolled: 1-line block ×3, first 2 shown]
	v_fmamk_f32 v36, v134, 0xbf737871, v23
	v_fmac_f32_e32 v23, 0x3f737871, v134
	v_add_f32_e32 v39, v41, v95
	v_fmamk_f32 v40, v136, 0x3f737871, v21
	v_fmac_f32_e32 v21, 0xbf737871, v136
	v_fmamk_f32 v37, v127, 0x3f737871, v24
	v_fmac_f32_e32 v24, 0xbf737871, v127
	;; [unrolled: 2-line block ×3, first 2 shown]
	v_add_f32_e32 v42, v43, v99
	v_add_f32_e32 v43, v44, v140
	v_fmamk_f32 v44, v123, 0xbf737871, v54
	v_fmac_f32_e32 v54, 0x3f737871, v123
	v_add_f32_e32 v46, v46, v45
	v_fmamk_f32 v45, v147, 0x3f737871, v55
	v_fmac_f32_e32 v55, 0xbf737871, v147
	v_fmac_f32_e32 v30, 0x3f167918, v111
	;; [unrolled: 1-line block ×7, first 2 shown]
	v_add_f32_e32 v113, v113, v121
	v_fmac_f32_e32 v32, 0x3f167918, v120
	v_fmac_f32_e32 v50, 0xbf167918, v120
	;; [unrolled: 1-line block ×4, first 2 shown]
	v_add_f32_e32 v115, v115, v91
	v_fmac_f32_e32 v34, 0x3f167918, v117
	v_fmac_f32_e32 v35, 0xbf167918, v114
	;; [unrolled: 1-line block ×3, first 2 shown]
	v_add_f32_e32 v121, v133, v139
	v_add_f32_e32 v38, v38, v98
	v_fmac_f32_e32 v19, 0xbf167918, v117
	v_fmac_f32_e32 v36, 0x3f167918, v136
	;; [unrolled: 1-line block ×28, first 2 shown]
	s_barrier
	buffer_gl0_inv
	v_add_f32_e32 v133, v13, v14
	v_add_f32_e32 v47, v48, v101
	v_fmac_f32_e32 v19, 0x3e9e377a, v115
	v_fmac_f32_e32 v36, 0x3e9e377a, v122
	;; [unrolled: 1-line block ×13, first 2 shown]
	ds_write2_b64 v88, v[38:39], v[30:31] offset1:10
	ds_write2_b64 v88, v[28:29], v[17:18] offset0:20 offset1:30
	ds_write_b64 v88, v[15:16] offset:320
	ds_write2_b64 v87, v[32:33], v[50:51] offset0:20 offset1:30
	ds_write2_b64 v87, v[42:43], v[34:35] offset1:10
	ds_write_b64 v87, v[19:20] offset:320
	ds_write2_b64 v86, v[46:47], v[40:41] offset1:10
	ds_write2_b64 v86, v[36:37], v[23:24] offset0:20 offset1:30
	ds_write_b64 v86, v[21:22] offset:320
	ds_write2_b64 v85, v[44:45], v[54:55] offset0:20 offset1:30
	v_add_f32_e32 v20, v12, v104
	v_add_f32_e32 v90, v141, v108
	v_fma_f32 v28, -0.5, v133, v5
	v_sub_f32_e32 v19, v106, v109
	v_sub_f32_e32 v21, v107, v108
	v_fma_f32 v5, -0.5, v20, v5
	v_sub_f32_e32 v126, v12, v104
	v_sub_f32_e32 v129, v13, v14
	v_add_f32_e32 v94, v144, v14
	v_add_f32_e32 v15, v90, v109
	v_sub_f32_e32 v17, v12, v13
	v_sub_f32_e32 v18, v104, v14
	v_fmamk_f32 v90, v19, 0xbf737871, v28
	v_fmac_f32_e32 v28, 0x3f737871, v19
	v_sub_f32_e32 v13, v13, v12
	v_sub_f32_e32 v14, v14, v104
	v_fmamk_f32 v92, v21, 0x3f737871, v5
	v_add_f32_e32 v12, v9, v10
	v_fmac_f32_e32 v5, 0xbf737871, v21
	v_add_f32_e32 v17, v17, v18
	v_fmac_f32_e32 v90, 0xbf167918, v21
	v_fmac_f32_e32 v28, 0x3f167918, v21
	;; [unrolled: 1-line block ×3, first 2 shown]
	v_fma_f32 v12, -0.5, v12, v6
	v_sub_f32_e32 v18, v0, v3
	v_add_f32_e32 v13, v13, v14
	v_fmac_f32_e32 v5, 0x3f167918, v19
	v_sub_f32_e32 v14, v8, v9
	v_sub_f32_e32 v19, v11, v10
	v_fmac_f32_e32 v90, 0x3e9e377a, v17
	v_fmac_f32_e32 v28, 0x3e9e377a, v17
	v_fmamk_f32 v17, v18, 0x3f737871, v12
	v_sub_f32_e32 v20, v1, v2
	v_fmac_f32_e32 v92, 0x3e9e377a, v13
	v_fmac_f32_e32 v12, 0xbf737871, v18
	v_add_f32_e32 v14, v14, v19
	v_add_f32_e32 v19, v8, v11
	v_fmac_f32_e32 v5, 0x3e9e377a, v13
	v_add_f32_e32 v13, v6, v8
	v_fmac_f32_e32 v17, 0x3f167918, v20
	v_fmac_f32_e32 v12, 0xbf167918, v20
	v_fma_f32 v6, -0.5, v19, v6
	v_add_f32_e32 v19, v7, v0
	v_add_f32_e32 v13, v13, v9
	v_fmac_f32_e32 v17, 0x3e9e377a, v14
	v_fmac_f32_e32 v12, 0x3e9e377a, v14
	v_sub_f32_e32 v14, v9, v8
	v_sub_f32_e32 v21, v10, v11
	v_add_f32_e32 v22, v19, v1
	v_add_f32_e32 v13, v13, v10
	v_fmamk_f32 v19, v20, 0xbf737871, v6
	v_fmac_f32_e32 v6, 0x3f737871, v20
	v_add_f32_e32 v14, v14, v21
	v_add_f32_e32 v20, v22, v2
	;; [unrolled: 1-line block ×5, first 2 shown]
	v_fmac_f32_e32 v19, 0x3f167918, v18
	v_fmac_f32_e32 v6, 0xbf167918, v18
	v_add_f32_e32 v22, v20, v3
	v_sub_f32_e32 v18, v0, v1
	v_sub_f32_e32 v20, v3, v2
	v_fma_f32 v13, -0.5, v13, v7
	v_sub_f32_e32 v9, v9, v10
	v_fmac_f32_e32 v7, -0.5, v23
	v_sub_f32_e32 v8, v8, v11
	v_add_f32_e32 v10, v18, v20
	v_sub_f32_e32 v0, v1, v0
	v_sub_f32_e32 v1, v2, v3
	v_fmamk_f32 v20, v9, 0x3f737871, v7
	v_fmac_f32_e32 v7, 0xbf737871, v9
	v_sub_f32_e32 v89, v107, v106
	v_sub_f32_e32 v91, v108, v109
	v_add_f32_e32 v0, v0, v1
	v_fmac_f32_e32 v20, 0xbf167918, v8
	v_fmac_f32_e32 v7, 0x3f167918, v8
	v_fmamk_f32 v48, v124, 0x3f737871, v25
	v_add_f32_e32 v139, v89, v91
	v_fmamk_f32 v49, v93, 0xbf737871, v26
	v_fmamk_f32 v89, v126, 0x3f737871, v27
	v_fmac_f32_e32 v27, 0xbf737871, v126
	v_fmamk_f32 v91, v129, 0xbf737871, v4
	v_fmac_f32_e32 v4, 0x3f737871, v129
	;; [unrolled: 2-line block ×3, first 2 shown]
	v_fmac_f32_e32 v7, 0x3e9e377a, v0
	v_mul_u32_u24_e32 v0, 0x190, v83
	v_lshlrev_b32_sdwa v1, v78, v84 dst_sel:DWORD dst_unused:UNUSED_PAD src0_sel:DWORD src1_sel:WORD_0
	v_mul_lo_u16 v2, v80, 41
	v_lshrrev_b16 v3, 1, v77
	v_mov_b32_e32 v29, 0x147b
	v_fmac_f32_e32 v25, 0xbf737871, v124
	v_fmac_f32_e32 v26, 0x3f737871, v93
	;; [unrolled: 1-line block ×10, first 2 shown]
	v_add3_u32 v0, 0, v0, v1
	v_lshrrev_b16 v44, 11, v2
	v_mul_u32_u24_sdwa v1, v3, v29 dst_sel:DWORD dst_unused:UNUSED_PAD src0_sel:WORD_0 src1_sel:DWORD
	v_mul_u32_u24_e32 v2, 0x190, v81
	v_lshlrev_b32_sdwa v3, v78, v82 dst_sel:DWORD dst_unused:UNUSED_PAD src0_sel:DWORD src1_sel:WORD_0
	v_fmac_f32_e32 v25, 0xbf167918, v123
	v_fmac_f32_e32 v26, 0x3f167918, v147
	;; [unrolled: 1-line block ×3, first 2 shown]
	v_add_f32_e32 v52, v52, v105
	v_add_f32_e32 v53, v53, v103
	v_fmac_f32_e32 v48, 0x3e9e377a, v132
	v_fmac_f32_e32 v49, 0x3e9e377a, v135
	;; [unrolled: 1-line block ×6, first 2 shown]
	v_add_f32_e32 v16, v94, v104
	v_fmac_f32_e32 v18, 0x3e9e377a, v10
	v_lshrrev_b32_e32 v40, 17, v1
	v_add3_u32 v1, 0, v2, v3
	v_fmac_f32_e32 v25, 0x3e9e377a, v132
	v_fmac_f32_e32 v26, 0x3e9e377a, v135
	;; [unrolled: 1-line block ×5, first 2 shown]
	ds_write2_b64 v85, v[52:53], v[48:49] offset1:10
	ds_write_b64 v85, v[25:26] offset:320
	ds_write2_b64 v0, v[15:16], v[89:90] offset1:10
	ds_write2_b64 v0, v[91:92], v[4:5] offset0:20 offset1:30
	ds_write_b64 v0, v[27:28] offset:320
	v_mul_lo_u16 v0, v40, 50
	ds_write2_b64 v1, v[21:22], v[17:18] offset1:10
	ds_write2_b64 v1, v[19:20], v[6:7] offset0:20 offset1:30
	ds_write_b64 v1, v[12:13] offset:320
	v_lshrrev_b16 v17, 1, v79
	v_mul_lo_u16 v8, v44, 50
	v_lshrrev_b16 v25, 1, v76
	v_sub_nc_u16 v39, v77, v0
	v_lshrrev_b16 v19, 1, v75
	v_mul_u32_u24_sdwa v0, v17, v29 dst_sel:DWORD dst_unused:UNUSED_PAD src0_sel:WORD_0 src1_sel:DWORD
	v_sub_nc_u16 v36, v56, v8
	v_add_nc_u32_e32 v22, 0x32a, v56
	v_lshrrev_b16 v16, 1, v74
	v_mul_u32_u24_sdwa v18, v19, v29 dst_sel:DWORD dst_unused:UNUSED_PAD src0_sel:WORD_0 src1_sel:DWORD
	v_lshrrev_b32_e32 v45, 17, v0
	v_add_nc_u32_e32 v21, 0x3b1, v56
	v_lshrrev_b16 v26, 1, v22
	v_mov_b32_e32 v24, 4
	v_lshrrev_b32_e32 v34, 17, v18
	v_mul_lo_u16 v8, v45, 50
	v_mul_u32_u24_sdwa v2, v16, v29 dst_sel:DWORD dst_unused:UNUSED_PAD src0_sel:WORD_0 src1_sel:DWORD
	v_mul_u32_u24_sdwa v28, v26, v29 dst_sel:DWORD dst_unused:UNUSED_PAD src0_sel:WORD_0 src1_sel:DWORD
	v_lshrrev_b16 v27, 1, v21
	s_waitcnt lgkmcnt(0)
	v_sub_nc_u16 v47, v79, v8
	v_mul_u32_u24_sdwa v8, v25, v29 dst_sel:DWORD dst_unused:UNUSED_PAD src0_sel:WORD_0 src1_sel:DWORD
	v_lshrrev_b32_e32 v41, 17, v2
	v_lshrrev_b32_e32 v35, 17, v28
	v_mul_u32_u24_sdwa v28, v27, v29 dst_sel:DWORD dst_unused:UNUSED_PAD src0_sel:WORD_0 src1_sel:DWORD
	s_barrier
	v_lshrrev_b32_e32 v33, 17, v8
	buffer_gl0_inv
	v_mul_lo_u16 v9, v41, 50
	v_add_nc_u32_e32 v20, 0x438, v56
	v_lshrrev_b32_e32 v42, 17, v28
	v_mul_lo_u16 v23, v33, 50
	v_lshlrev_b32_sdwa v1, v24, v36 dst_sel:DWORD dst_unused:UNUSED_PAD src0_sel:DWORD src1_sel:BYTE_0
	v_lshlrev_b32_sdwa v3, v24, v39 dst_sel:DWORD dst_unused:UNUSED_PAD src0_sel:DWORD src1_sel:WORD_0
	v_sub_nc_u16 v48, v74, v9
	v_lshlrev_b32_sdwa v9, v24, v47 dst_sel:DWORD dst_unused:UNUSED_PAD src0_sel:DWORD src1_sel:WORD_0
	v_sub_nc_u16 v38, v76, v23
	v_mul_lo_u16 v23, v34, 50
	v_lshrrev_b16 v18, 1, v20
	s_clause 0x1
	global_load_dwordx4 v[4:7], v1, s[8:9] offset:320
	global_load_dwordx4 v[8:11], v9, s[8:9] offset:320
	v_lshlrev_b32_sdwa v30, v24, v38 dst_sel:DWORD dst_unused:UNUSED_PAD src0_sel:DWORD src1_sel:WORD_0
	v_sub_nc_u16 v37, v75, v23
	v_add_nc_u32_e32 v23, 0x4bf, v56
	global_load_dwordx4 v[0:3], v3, s[8:9] offset:320
	v_mul_u32_u24_sdwa v31, v18, v29 dst_sel:DWORD dst_unused:UNUSED_PAD src0_sel:WORD_0 src1_sel:DWORD
	global_load_dwordx4 v[49:52], v30, s[8:9] offset:320
	v_lshlrev_b32_sdwa v32, v24, v37 dst_sel:DWORD dst_unused:UNUSED_PAD src0_sel:DWORD src1_sel:WORD_0
	v_lshrrev_b16 v28, 1, v23
	v_lshlrev_b32_sdwa v12, v24, v48 dst_sel:DWORD dst_unused:UNUSED_PAD src0_sel:DWORD src1_sel:WORD_0
	v_lshrrev_b32_e32 v31, 17, v31
	ds_read2_b64 v[100:103], v69 offset0:70 offset1:205
	global_load_dwordx4 v[80:83], v32, s[8:9] offset:320
	v_mul_lo_u16 v30, v35, 50
	v_mul_u32_u24_sdwa v29, v28, v29 dst_sel:DWORD dst_unused:UNUSED_PAD src0_sel:WORD_0 src1_sel:DWORD
	global_load_dwordx4 v[12:15], v12, s[8:9] offset:320
	v_mul_lo_u16 v32, v31, 50
	ds_read2_b64 v[104:107], v70 offset0:12 offset1:147
	v_sub_nc_u16 v46, v22, v30
	v_mul_lo_u16 v30, v42, 50
	v_lshrrev_b32_e32 v29, 17, v29
	v_sub_nc_u16 v32, v20, v32
	v_mul_u32_u24_e32 v45, 0x4b0, v45
	v_lshlrev_b32_sdwa v53, v24, v46 dst_sel:DWORD dst_unused:UNUSED_PAD src0_sel:DWORD src1_sel:WORD_0
	v_sub_nc_u16 v43, v21, v30
	v_lshlrev_b32_sdwa v36, v78, v36 dst_sel:DWORD dst_unused:UNUSED_PAD src0_sel:DWORD src1_sel:BYTE_0
	v_lshlrev_b32_sdwa v54, v24, v32 dst_sel:DWORD dst_unused:UNUSED_PAD src0_sel:DWORD src1_sel:WORD_0
	v_lshlrev_b32_sdwa v47, v78, v47 dst_sel:DWORD dst_unused:UNUSED_PAD src0_sel:DWORD src1_sel:WORD_0
	global_load_dwordx4 v[84:87], v53, s[8:9] offset:320
	v_lshlrev_b32_sdwa v30, v24, v43 dst_sel:DWORD dst_unused:UNUSED_PAD src0_sel:DWORD src1_sel:WORD_0
	v_mul_u32_u24_e32 v40, 0x4b0, v40
	global_load_dwordx4 v[92:95], v54, s[8:9] offset:320
	v_lshlrev_b32_sdwa v39, v78, v39 dst_sel:DWORD dst_unused:UNUSED_PAD src0_sel:DWORD src1_sel:WORD_0
	v_add3_u32 v140, 0, v45, v47
	global_load_dwordx4 v[88:91], v30, s[8:9] offset:320
	v_mul_lo_u16 v53, v29, 50
	v_mul_u32_u24_e32 v41, 0x4b0, v41
	v_lshlrev_b32_sdwa v48, v78, v48 dst_sel:DWORD dst_unused:UNUSED_PAD src0_sel:DWORD src1_sel:WORD_0
	v_add3_u32 v55, 0, v40, v39
	v_mul_u32_u24_e32 v33, 0x4b0, v33
	v_sub_nc_u16 v30, v23, v53
	v_lshlrev_b32_sdwa v38, v78, v38 dst_sel:DWORD dst_unused:UNUSED_PAD src0_sel:DWORD src1_sel:WORD_0
	v_add3_u32 v41, 0, v41, v48
	v_mul_u32_u24_e32 v35, 0x4b0, v35
	v_lshlrev_b32_sdwa v53, v24, v30 dst_sel:DWORD dst_unused:UNUSED_PAD src0_sel:DWORD src1_sel:WORD_0
	v_add3_u32 v33, 0, v33, v38
	v_lshlrev_b32_sdwa v30, v78, v30 dst_sel:DWORD dst_unused:UNUSED_PAD src0_sel:DWORD src1_sel:WORD_0
	global_load_dwordx4 v[96:99], v53, s[8:9] offset:320
	v_mov_b32_e32 v53, 0x4b0
	ds_read2_b64 v[108:111], v63 offset0:84 offset1:219
	ds_read2_b64 v[112:115], v73 offset0:26 offset1:161
	;; [unrolled: 1-line block ×8, first 2 shown]
	v_mul_u32_u24_sdwa v44, v44, v53 dst_sel:DWORD dst_unused:UNUSED_PAD src0_sel:WORD_0 src1_sel:DWORD
	v_add3_u32 v36, 0, v44, v36
	s_waitcnt vmcnt(9) lgkmcnt(8)
	v_mul_f32_e32 v44, v7, v104
	v_mul_f32_e32 v39, v5, v101
	;; [unrolled: 1-line block ×4, first 2 shown]
	s_waitcnt vmcnt(7)
	v_mul_f32_e32 v45, v103, v1
	v_mul_f32_e32 v47, v102, v1
	;; [unrolled: 1-line block ×3, first 2 shown]
	v_fmac_f32_e32 v44, v6, v105
	v_mul_f32_e32 v53, v106, v3
	v_fma_f32 v45, v102, v0, -v45
	v_fmac_f32_e32 v47, v103, v0
	v_fma_f32 v54, v106, v2, -v1
	s_waitcnt lgkmcnt(7)
	v_mul_f32_e32 v0, v109, v9
	s_waitcnt lgkmcnt(6)
	v_mul_f32_e32 v1, v113, v11
	v_mul_f32_e32 v105, v112, v11
	v_fma_f32 v48, v6, v104, -v5
	v_mul_f32_e32 v104, v108, v9
	v_fma_f32 v39, v4, v100, -v39
	v_fmac_f32_e32 v40, v4, v101
	ds_read2_b64 v[4:7], v60 offset1:135
	ds_read2_b64 v[100:103], v68 offset0:14 offset1:149
	v_fmac_f32_e32 v53, v107, v2
	s_waitcnt vmcnt(4)
	v_mul_f32_e32 v9, v111, v13
	v_mul_f32_e32 v106, v110, v13
	v_fma_f32 v107, v108, v8, -v0
	v_fma_f32 v108, v112, v10, -v1
	v_fmac_f32_e32 v105, v113, v10
	v_mul_f32_e32 v13, v115, v15
	s_waitcnt lgkmcnt(7)
	v_mul_f32_e32 v112, v117, v50
	v_mul_f32_e32 v113, v116, v50
	v_fmac_f32_e32 v104, v109, v8
	v_mul_f32_e32 v109, v114, v15
	s_waitcnt lgkmcnt(6)
	v_mul_f32_e32 v50, v121, v52
	v_fmac_f32_e32 v106, v111, v12
	v_fma_f32 v111, v114, v14, -v13
	v_mul_f32_e32 v114, v120, v52
	v_fma_f32 v112, v116, v49, -v112
	v_fmac_f32_e32 v113, v117, v49
	v_mul_f32_e32 v49, v119, v81
	v_fmac_f32_e32 v109, v115, v14
	v_fma_f32 v115, v120, v51, -v50
	v_mul_f32_e32 v50, v123, v83
	v_fmac_f32_e32 v114, v121, v51
	v_mul_f32_e32 v116, v118, v81
	v_fma_f32 v118, v118, v80, -v49
	s_waitcnt vmcnt(3) lgkmcnt(5)
	v_mul_f32_e32 v49, v125, v85
	s_waitcnt lgkmcnt(4)
	v_mul_f32_e32 v51, v129, v87
	v_mul_f32_e32 v87, v128, v87
	v_fma_f32 v120, v122, v82, -v50
	s_waitcnt vmcnt(1)
	v_mul_f32_e32 v50, v127, v89
	v_mul_f32_e32 v89, v126, v89
	;; [unrolled: 1-line block ×4, first 2 shown]
	v_fmac_f32_e32 v116, v119, v80
	v_mul_f32_e32 v119, v124, v85
	v_mul_f32_e32 v91, v130, v91
	s_waitcnt lgkmcnt(3)
	v_mul_f32_e32 v80, v133, v93
	v_mul_f32_e32 v93, v132, v93
	s_waitcnt lgkmcnt(2)
	v_mul_f32_e32 v81, v137, v95
	v_mul_f32_e32 v95, v136, v95
	v_fma_f32 v121, v124, v84, -v49
	v_fma_f32 v122, v128, v86, -v51
	v_fmac_f32_e32 v87, v129, v86
	s_waitcnt vmcnt(0)
	v_mul_f32_e32 v49, v135, v97
	v_mul_f32_e32 v86, v134, v97
	;; [unrolled: 1-line block ×3, first 2 shown]
	ds_read2_b64 v[0:3], v72 offset0:28 offset1:163
	v_fma_f32 v110, v110, v12, -v9
	v_mul_f32_e32 v97, v138, v99
	v_fma_f32 v99, v126, v88, -v50
	v_fmac_f32_e32 v89, v127, v88
	v_fma_f32 v88, v130, v90, -v52
	v_add_f32_e32 v50, v40, v44
	v_add_f32_e32 v52, v39, v48
	v_fmac_f32_e32 v117, v123, v82
	s_waitcnt lgkmcnt(2)
	v_add_f32_e32 v82, v7, v47
	v_sub_f32_e32 v83, v47, v53
	v_add_f32_e32 v47, v47, v53
	v_add_f32_e32 v85, v45, v54
	v_fmac_f32_e32 v119, v125, v84
	v_fmac_f32_e32 v91, v131, v90
	v_fma_f32 v90, v132, v92, -v80
	v_fmac_f32_e32 v93, v133, v92
	v_fma_f32 v92, v136, v94, -v81
	;; [unrolled: 2-line block ×4, first 2 shown]
	v_add_f32_e32 v51, v4, v39
	s_waitcnt lgkmcnt(1)
	v_add_f32_e32 v123, v101, v104
	v_sub_f32_e32 v125, v104, v105
	v_add_f32_e32 v104, v104, v105
	v_add_f32_e32 v126, v107, v108
	;; [unrolled: 1-line block ×3, first 2 shown]
	v_sub_f32_e32 v80, v40, v44
	v_sub_f32_e32 v81, v39, v48
	v_add_f32_e32 v84, v6, v45
	v_add_f32_e32 v127, v103, v106
	v_sub_f32_e32 v128, v106, v109
	v_add_f32_e32 v106, v106, v109
	v_add_f32_e32 v130, v110, v111
	v_fma_f32 v4, -0.5, v52, v4
	v_fma_f32 v5, -0.5, v50, v5
	v_fmac_f32_e32 v97, v139, v98
	v_sub_f32_e32 v98, v45, v54
	v_fma_f32 v6, -0.5, v85, v6
	v_fmac_f32_e32 v7, -0.5, v47
	v_add_f32_e32 v124, v100, v107
	v_sub_f32_e32 v107, v107, v108
	v_add_f32_e32 v39, v51, v48
	v_fma_f32 v51, -0.5, v126, v100
	v_fma_f32 v52, -0.5, v104, v101
	v_add_f32_e32 v129, v102, v110
	v_sub_f32_e32 v110, v110, v111
	v_add_f32_e32 v40, v49, v44
	v_add_f32_e32 v45, v82, v53
	;; [unrolled: 1-line block ×3, first 2 shown]
	v_fma_f32 v102, -0.5, v130, v102
	v_fmac_f32_e32 v103, -0.5, v106
	v_fmamk_f32 v53, v80, 0x3f5db3d7, v4
	v_fmamk_f32 v54, v81, 0xbf5db3d7, v5
	v_fmac_f32_e32 v4, 0xbf5db3d7, v80
	v_fmac_f32_e32 v5, 0x3f5db3d7, v81
	v_fmamk_f32 v80, v83, 0x3f5db3d7, v6
	v_fmamk_f32 v81, v98, 0xbf5db3d7, v7
	v_fmac_f32_e32 v6, 0xbf5db3d7, v83
	v_fmac_f32_e32 v7, 0x3f5db3d7, v98
	v_add_f32_e32 v48, v123, v105
	v_add_f32_e32 v47, v124, v108
	v_fmamk_f32 v82, v125, 0x3f5db3d7, v51
	v_fmamk_f32 v83, v107, 0xbf5db3d7, v52
	ds_read2_b64 v[8:11], v57 offset0:42 offset1:177
	ds_read2_b64 v[12:15], v65 offset0:56 offset1:191
	s_waitcnt lgkmcnt(0)
	s_barrier
	buffer_gl0_inv
	v_add_f32_e32 v50, v127, v109
	v_add_f32_e32 v49, v129, v111
	v_fmac_f32_e32 v51, 0xbf5db3d7, v125
	v_fmac_f32_e32 v52, 0x3f5db3d7, v107
	v_fmamk_f32 v84, v128, 0x3f5db3d7, v102
	v_fmamk_f32 v85, v110, 0xbf5db3d7, v103
	ds_write2_b64 v36, v[39:40], v[53:54] offset1:50
	ds_write_b64 v36, v[4:5] offset:800
	ds_write2_b64 v55, v[44:45], v[80:81] offset1:50
	ds_write_b64 v55, v[6:7] offset:800
	;; [unrolled: 2-line block ×3, first 2 shown]
	ds_write2_b64 v41, v[49:50], v[84:85] offset1:50
	v_add_f32_e32 v4, v112, v115
	v_add_f32_e32 v7, v113, v114
	;; [unrolled: 1-line block ×4, first 2 shown]
	v_sub_f32_e32 v36, v113, v114
	v_fma_f32 v0, -0.5, v4, v0
	v_fma_f32 v1, -0.5, v7, v1
	v_sub_f32_e32 v39, v112, v115
	v_fmac_f32_e32 v102, 0xbf5db3d7, v128
	v_fmac_f32_e32 v103, 0x3f5db3d7, v110
	v_add_f32_e32 v4, v5, v115
	v_add_f32_e32 v5, v6, v114
	v_fmamk_f32 v6, v36, 0x3f5db3d7, v0
	v_fmamk_f32 v7, v39, 0xbf5db3d7, v1
	v_fmac_f32_e32 v0, 0xbf5db3d7, v36
	v_fmac_f32_e32 v1, 0x3f5db3d7, v39
	ds_write_b64 v41, v[102:103] offset:800
	ds_write2_b64 v33, v[4:5], v[6:7] offset1:50
	v_add_f32_e32 v5, v116, v117
	v_add_f32_e32 v4, v2, v118
	ds_write_b64 v33, v[0:1] offset:800
	v_add_f32_e32 v1, v3, v116
	v_sub_f32_e32 v33, v118, v120
	v_fmac_f32_e32 v3, -0.5, v5
	v_add_f32_e32 v36, v118, v120
	v_add_f32_e32 v0, v4, v120
	v_mul_u32_u24_e32 v4, 0x4b0, v34
	v_lshlrev_b32_sdwa v6, v78, v37 dst_sel:DWORD dst_unused:UNUSED_PAD src0_sel:DWORD src1_sel:WORD_0
	v_fmamk_f32 v5, v33, 0xbf5db3d7, v3
	v_fmac_f32_e32 v3, 0x3f5db3d7, v33
	v_add_f32_e32 v33, v121, v122
	v_lshlrev_b32_sdwa v37, v78, v46 dst_sel:DWORD dst_unused:UNUSED_PAD src0_sel:DWORD src1_sel:WORD_0
	v_fma_f32 v2, -0.5, v36, v2
	v_sub_f32_e32 v7, v116, v117
	v_add3_u32 v39, 0, v4, v6
	v_add_f32_e32 v6, v8, v121
	v_add_f32_e32 v34, v119, v87
	v_sub_f32_e32 v36, v119, v87
	v_fma_f32 v8, -0.5, v33, v8
	v_add3_u32 v40, 0, v35, v37
	v_add_f32_e32 v35, v99, v88
	v_fmamk_f32 v4, v7, 0x3f5db3d7, v2
	v_fmac_f32_e32 v2, 0xbf5db3d7, v7
	v_add_f32_e32 v7, v9, v119
	v_fma_f32 v9, -0.5, v34, v9
	v_sub_f32_e32 v38, v121, v122
	v_fmamk_f32 v33, v36, 0x3f5db3d7, v8
	v_fmac_f32_e32 v8, 0xbf5db3d7, v36
	v_add_f32_e32 v36, v10, v99
	v_fma_f32 v10, -0.5, v35, v10
	v_add_f32_e32 v35, v89, v91
	v_fmamk_f32 v34, v38, 0xbf5db3d7, v9
	v_fmac_f32_e32 v9, 0x3f5db3d7, v38
	v_add_f32_e32 v37, v11, v89
	v_sub_f32_e32 v41, v89, v91
	v_mul_u32_u24_e32 v38, 0x4b0, v42
	v_lshlrev_b32_sdwa v42, v78, v43 dst_sel:DWORD dst_unused:UNUSED_PAD src0_sel:DWORD src1_sel:WORD_0
	v_fmac_f32_e32 v11, -0.5, v35
	v_sub_f32_e32 v43, v99, v88
	v_add_f32_e32 v1, v1, v117
	v_add_f32_e32 v6, v6, v122
	;; [unrolled: 1-line block ×5, first 2 shown]
	v_add3_u32 v42, 0, v38, v42
	v_fmamk_f32 v37, v41, 0x3f5db3d7, v10
	v_fmamk_f32 v38, v43, 0xbf5db3d7, v11
	ds_write2_b64 v39, v[0:1], v[4:5] offset1:50
	ds_write_b64 v39, v[2:3] offset:800
	ds_write2_b64 v40, v[6:7], v[33:34] offset1:50
	ds_write_b64 v40, v[8:9] offset:800
	ds_write2_b64 v42, v[35:36], v[37:38] offset1:50
	v_add_f32_e32 v0, v90, v92
	v_sub_f32_e32 v5, v93, v95
	v_add_f32_e32 v1, v12, v90
	v_add_f32_e32 v6, v93, v95
	v_add_f32_e32 v9, v86, v97
	v_fma_f32 v0, -0.5, v0, v12
	v_add_f32_e32 v3, v13, v93
	v_add_f32_e32 v2, v1, v92
	v_fma_f32 v1, -0.5, v6, v13
	v_add_f32_e32 v6, v14, v94
	v_fmamk_f32 v4, v5, 0x3f5db3d7, v0
	v_fmac_f32_e32 v0, 0xbf5db3d7, v5
	v_add_f32_e32 v5, v94, v96
	v_add_f32_e32 v7, v15, v86
	v_sub_f32_e32 v8, v90, v92
	v_sub_f32_e32 v12, v86, v97
	v_fmac_f32_e32 v15, -0.5, v9
	v_fma_f32 v14, -0.5, v5, v14
	v_sub_f32_e32 v13, v94, v96
	v_mov_b32_e32 v33, 0xda75
	v_fmamk_f32 v5, v8, 0xbf5db3d7, v1
	v_fmac_f32_e32 v1, 0x3f5db3d7, v8
	v_fmamk_f32 v8, v12, 0x3f5db3d7, v14
	v_fmac_f32_e32 v14, 0xbf5db3d7, v12
	v_fmamk_f32 v9, v13, 0xbf5db3d7, v15
	v_mul_u32_u24_sdwa v12, v17, v33 dst_sel:DWORD dst_unused:UNUSED_PAD src0_sel:WORD_0 src1_sel:DWORD
	v_fmac_f32_e32 v15, 0x3f5db3d7, v13
	v_mul_u32_u24_e32 v13, 0x4b0, v31
	v_lshlrev_b32_sdwa v17, v78, v32 dst_sel:DWORD dst_unused:UNUSED_PAD src0_sel:DWORD src1_sel:WORD_0
	v_mul_u32_u24_sdwa v16, v16, v33 dst_sel:DWORD dst_unused:UNUSED_PAD src0_sel:WORD_0 src1_sel:DWORD
	v_fmac_f32_e32 v10, 0xbf5db3d7, v41
	v_fmac_f32_e32 v11, 0x3f5db3d7, v43
	v_add_f32_e32 v3, v3, v95
	v_lshrrev_b32_e32 v39, 22, v12
	v_mul_u32_u24_e32 v12, 0x4b0, v29
	v_add3_u32 v13, 0, v13, v17
	v_lshrrev_b32_e32 v29, 22, v16
	v_add_f32_e32 v6, v6, v96
	v_add_f32_e32 v7, v7, v97
	ds_write_b64 v42, v[10:11] offset:800
	v_add3_u32 v10, 0, v12, v30
	ds_write2_b64 v13, v[2:3], v[4:5] offset1:50
	v_mul_lo_u16 v2, 0x96, v29
	ds_write_b64 v13, v[0:1] offset:800
	ds_write2_b64 v10, v[6:7], v[8:9] offset1:50
	ds_write_b64 v10, v[14:15] offset:800
	v_mul_u32_u24_sdwa v1, v25, v33 dst_sel:DWORD dst_unused:UNUSED_PAD src0_sel:WORD_0 src1_sel:DWORD
	v_mul_lo_u16 v16, 0x96, v39
	v_sub_nc_u16 v32, v74, v2
	v_mul_u32_u24_sdwa v2, v19, v33 dst_sel:DWORD dst_unused:UNUSED_PAD src0_sel:WORD_0 src1_sel:DWORD
	v_mul_u32_u24_sdwa v18, v18, v33 dst_sel:DWORD dst_unused:UNUSED_PAD src0_sel:WORD_0 src1_sel:DWORD
	v_lshrrev_b32_e32 v36, 22, v1
	v_sub_nc_u16 v40, v79, v16
	v_mul_u32_u24_sdwa v16, v28, v33 dst_sel:DWORD dst_unused:UNUSED_PAD src0_sel:WORD_0 src1_sel:DWORD
	v_lshrrev_b32_e32 v30, 22, v2
	v_lshlrev_b32_sdwa v3, v24, v32 dst_sel:DWORD dst_unused:UNUSED_PAD src0_sel:DWORD src1_sel:WORD_0
	v_mul_lo_u16 v8, 0x96, v36
	v_lshlrev_b32_sdwa v0, v24, v40 dst_sel:DWORD dst_unused:UNUSED_PAD src0_sel:DWORD src1_sel:WORD_0
	v_lshrrev_b32_e32 v16, 22, v16
	v_mul_lo_u16 v9, 0x96, v30
	s_waitcnt lgkmcnt(0)
	v_sub_nc_u16 v37, v76, v8
	v_mul_u32_u24_sdwa v8, v26, v33 dst_sel:DWORD dst_unused:UNUSED_PAD src0_sel:WORD_0 src1_sel:DWORD
	v_mul_lo_u16 v16, 0x96, v16
	v_sub_nc_u16 v31, v75, v9
	v_mul_u32_u24_sdwa v9, v27, v33 dst_sel:DWORD dst_unused:UNUSED_PAD src0_sel:WORD_0 src1_sel:DWORD
	v_lshlrev_b32_sdwa v10, v24, v37 dst_sel:DWORD dst_unused:UNUSED_PAD src0_sel:DWORD src1_sel:WORD_0
	v_lshrrev_b32_e32 v34, 22, v8
	v_lshrrev_b32_e32 v27, 22, v18
	v_lshlrev_b32_sdwa v11, v24, v31 dst_sel:DWORD dst_unused:UNUSED_PAD src0_sel:DWORD src1_sel:WORD_0
	v_lshrrev_b32_e32 v26, 22, v9
	s_barrier
	v_mul_lo_u16 v17, 0x96, v34
	buffer_gl0_inv
	global_load_dwordx4 v[4:7], v0, s[8:9] offset:1120
	v_mul_lo_u16 v19, 0x96, v26
	global_load_dwordx4 v[0:3], v3, s[8:9] offset:1120
	v_sub_nc_u16 v38, v22, v17
	s_clause 0x1
	global_load_dwordx4 v[12:15], v10, s[8:9] offset:1120
	global_load_dwordx4 v[8:11], v11, s[8:9] offset:1120
	v_sub_nc_u16 v16, v23, v16
	v_sub_nc_u16 v28, v21, v19
	v_mul_lo_u16 v19, 0x96, v27
	v_lshlrev_b32_sdwa v17, v24, v38 dst_sel:DWORD dst_unused:UNUSED_PAD src0_sel:DWORD src1_sel:WORD_0
	v_mul_u32_u24_e32 v39, 0xe10, v39
	v_and_b32_e32 v33, 0xffff, v16
	v_lshlrev_b32_sdwa v18, v24, v28 dst_sel:DWORD dst_unused:UNUSED_PAD src0_sel:DWORD src1_sel:WORD_0
	s_clause 0x1
	global_load_dwordx4 v[41:44], v17, s[8:9] offset:1120
	global_load_dwordx4 v[45:48], v18, s[8:9] offset:1120
	v_add_nc_u32_e32 v18, -15, v56
	v_mov_b32_e32 v17, 0
	v_lshlrev_b32_e32 v16, 1, v56
	v_sub_nc_u16 v35, v20, v19
	v_lshlrev_b32_e32 v55, 4, v33
	v_cndmask_b32_e64 v25, v18, v77, s0
	v_mov_b32_e32 v19, v17
	v_lshlrev_b64 v[53:54], 3, v[16:17]
	v_lshlrev_b32_sdwa v49, v24, v35 dst_sel:DWORD dst_unused:UNUSED_PAD src0_sel:DWORD src1_sel:WORD_0
	s_clause 0x1
	global_load_dwordx4 v[49:52], v49, s[8:9] offset:1120
	global_load_dwordx4 v[80:83], v55, s[8:9] offset:1120
	v_lshlrev_b32_e32 v18, 1, v25
	v_lshlrev_b32_sdwa v40, v78, v40 dst_sel:DWORD dst_unused:UNUSED_PAD src0_sel:DWORD src1_sel:WORD_0
	v_mul_u32_u24_e32 v26, 0xe10, v26
	v_lshlrev_b32_sdwa v28, v78, v28 dst_sel:DWORD dst_unused:UNUSED_PAD src0_sel:DWORD src1_sel:WORD_0
	v_mul_u32_u24_e32 v27, 0xe10, v27
	v_lshlrev_b64 v[84:85], 3, v[18:19]
	v_add_co_u32 v18, s0, s8, v53
	v_add_co_ci_u32_e64 v19, s0, s9, v54, s0
	v_add3_u32 v132, 0, v39, v40
	v_add_co_u32 v53, s0, s8, v84
	v_add_co_ci_u32_e64 v54, s0, s9, v85, s0
	s_clause 0x1
	global_load_dwordx4 v[84:87], v[18:19], off offset:1120
	global_load_dwordx4 v[88:91], v[53:54], off offset:1120
	ds_read2_b64 v[96:99], v73 offset0:26 offset1:161
	ds_read2_b64 v[92:95], v63 offset0:84 offset1:219
	v_cmp_lt_u32_e64 s0, 14, v56
	v_lshlrev_b32_e32 v54, 3, v25
	v_add_nc_u32_e32 v25, 0x2c00, v60
	v_add3_u32 v28, 0, v26, v28
	v_lshlrev_b32_e32 v26, 1, v79
	v_cndmask_b32_e64 v53, 0, 0xe10, s0
	v_cmp_gt_u32_e64 s0, 45, v56
	v_add3_u32 v55, 0, v53, v54
	ds_read2_b64 v[100:103], v67 offset0:98 offset1:233
	ds_read2_b64 v[104:107], v62 offset0:40 offset1:175
	;; [unrolled: 1-line block ×6, first 2 shown]
	ds_read_b64 v[39:40], v60 offset:10800
	ds_read2_b64 v[124:127], v70 offset0:12 offset1:147
	ds_read2_b32 v[53:54], v25 offset0:154 offset1:155
	ds_read2_b64 v[128:131], v60 offset1:135
	s_waitcnt vmcnt(9) lgkmcnt(11)
	v_mul_f32_e32 v135, v96, v7
	s_waitcnt lgkmcnt(10)
	v_mul_f32_e32 v133, v93, v5
	v_mul_f32_e32 v134, v92, v5
	;; [unrolled: 1-line block ×3, first 2 shown]
	s_waitcnt vmcnt(8)
	v_mul_f32_e32 v136, v95, v1
	v_mul_f32_e32 v137, v94, v1
	v_fmac_f32_e32 v135, v97, v6
	v_mul_f32_e32 v97, v98, v3
	v_mul_f32_e32 v1, v99, v3
	v_fma_f32 v136, v94, v0, -v136
	v_fmac_f32_e32 v137, v95, v0
	s_waitcnt vmcnt(7) lgkmcnt(9)
	v_mul_f32_e32 v0, v101, v13
	v_fmac_f32_e32 v97, v99, v2
	v_mul_f32_e32 v99, v100, v13
	s_waitcnt vmcnt(6)
	v_mul_f32_e32 v13, v103, v9
	v_mul_f32_e32 v139, v102, v9
	v_fma_f32 v98, v98, v2, -v1
	s_waitcnt lgkmcnt(8)
	v_mul_f32_e32 v1, v105, v15
	v_mul_f32_e32 v138, v104, v15
	v_fma_f32 v102, v102, v8, -v13
	v_fmac_f32_e32 v139, v103, v8
	v_mul_f32_e32 v8, v107, v11
	v_mul_f32_e32 v103, v106, v11
	v_fmac_f32_e32 v99, v101, v12
	v_fma_f32 v101, v104, v14, -v1
	v_fmac_f32_e32 v138, v105, v14
	v_fma_f32 v104, v106, v10, -v8
	v_fmac_f32_e32 v103, v107, v10
	s_waitcnt vmcnt(5) lgkmcnt(7)
	v_mul_f32_e32 v8, v109, v42
	v_mul_f32_e32 v105, v108, v42
	s_waitcnt lgkmcnt(6)
	v_mul_f32_e32 v9, v113, v44
	v_mul_f32_e32 v106, v112, v44
	s_waitcnt vmcnt(4)
	v_mul_f32_e32 v10, v111, v46
	v_mul_f32_e32 v107, v110, v46
	;; [unrolled: 1-line block ×4, first 2 shown]
	v_fma_f32 v133, v92, v4, -v133
	v_fmac_f32_e32 v134, v93, v4
	v_fma_f32 v96, v96, v6, -v5
	ds_read2_b64 v[4:7], v68 offset0:14 offset1:149
	v_fma_f32 v108, v108, v41, -v8
	v_fmac_f32_e32 v105, v109, v41
	v_fma_f32 v109, v112, v43, -v9
	v_fmac_f32_e32 v106, v113, v43
	s_waitcnt vmcnt(3) lgkmcnt(6)
	v_mul_f32_e32 v8, v117, v50
	v_mul_f32_e32 v50, v116, v50
	s_waitcnt lgkmcnt(5)
	v_mul_f32_e32 v9, v121, v52
	v_mul_f32_e32 v52, v120, v52
	v_fma_f32 v110, v110, v45, -v10
	v_fmac_f32_e32 v107, v111, v45
	s_waitcnt vmcnt(2)
	v_mul_f32_e32 v10, v119, v81
	v_fma_f32 v111, v114, v47, -v11
	s_waitcnt vmcnt(1) lgkmcnt(4)
	v_mul_f32_e32 v11, v85, v40
	v_mul_f32_e32 v42, v85, v39
	s_waitcnt lgkmcnt(3)
	v_mul_f32_e32 v43, v87, v125
	v_mul_f32_e32 v44, v87, v124
	v_fmac_f32_e32 v140, v115, v47
	s_waitcnt vmcnt(0)
	v_mul_f32_e32 v45, v127, v91
	v_mul_f32_e32 v46, v126, v91
	s_waitcnt lgkmcnt(2)
	v_mul_f32_e32 v47, v54, v89
	v_mul_f32_e32 v48, v89, v53
	v_mul_f32_e32 v81, v118, v81
	v_mul_f32_e32 v41, v123, v83
	v_fma_f32 v85, v116, v49, -v8
	v_fmac_f32_e32 v50, v117, v49
	v_fma_f32 v49, v120, v51, -v9
	v_fmac_f32_e32 v52, v121, v51
	v_fma_f32 v51, v118, v80, -v10
	v_fma_f32 v8, v84, v39, -v11
	v_fmac_f32_e32 v42, v84, v40
	v_fma_f32 v10, v86, v124, -v43
	v_fmac_f32_e32 v44, v86, v125
	v_mul_f32_e32 v83, v122, v83
	v_fma_f32 v39, v126, v90, -v45
	v_fmac_f32_e32 v46, v127, v90
	v_fma_f32 v9, v88, v53, -v47
	v_fmac_f32_e32 v48, v54, v88
	v_fmac_f32_e32 v81, v119, v80
	v_fma_f32 v80, v122, v82, -v41
	v_add_f32_e32 v40, v8, v10
	v_add_f32_e32 v41, v42, v44
	v_fmac_f32_e32 v83, v123, v82
	s_waitcnt lgkmcnt(1)
	v_add_f32_e32 v43, v131, v48
	v_sub_f32_e32 v53, v48, v46
	v_add_f32_e32 v48, v48, v46
	v_add_f32_e32 v82, v9, v39
	;; [unrolled: 1-line block ×5, first 2 shown]
	v_sub_f32_e32 v45, v42, v44
	v_add_f32_e32 v42, v128, v8
	v_sub_f32_e32 v47, v8, v10
	v_add_f32_e32 v54, v130, v9
	v_sub_f32_e32 v84, v9, v39
	v_fma_f32 v8, -0.5, v40, v128
	v_fma_f32 v9, -0.5, v41, v129
	ds_read2_b64 v[92:95], v72 offset0:28 offset1:163
	v_fma_f32 v130, -0.5, v82, v130
	v_fmac_f32_e32 v131, -0.5, v48
	s_waitcnt lgkmcnt(1)
	v_add_f32_e32 v86, v5, v134
	v_sub_f32_e32 v89, v134, v135
	v_add_f32_e32 v90, v4, v133
	v_sub_f32_e32 v91, v133, v96
	v_fma_f32 v4, -0.5, v87, v4
	v_fma_f32 v5, -0.5, v88, v5
	v_add_f32_e32 v11, v11, v44
	v_add_f32_e32 v10, v42, v10
	;; [unrolled: 1-line block ×3, first 2 shown]
	v_fmamk_f32 v43, v45, 0x3f5db3d7, v8
	v_fmamk_f32 v44, v47, 0xbf5db3d7, v9
	v_add_f32_e32 v112, v136, v98
	v_fmac_f32_e32 v8, 0xbf5db3d7, v45
	v_fmac_f32_e32 v9, 0x3f5db3d7, v47
	v_add_f32_e32 v39, v54, v39
	v_fmamk_f32 v45, v53, 0x3f5db3d7, v130
	v_fmamk_f32 v46, v84, 0xbf5db3d7, v131
	v_fmac_f32_e32 v130, 0xbf5db3d7, v53
	v_fmac_f32_e32 v131, 0x3f5db3d7, v84
	v_add_f32_e32 v42, v86, v135
	v_add_f32_e32 v41, v90, v96
	v_fmamk_f32 v47, v89, 0x3f5db3d7, v4
	v_fmamk_f32 v48, v91, 0xbf5db3d7, v5
	v_fmac_f32_e32 v5, 0x3f5db3d7, v91
	v_fma_f32 v100, v100, v12, -v0
	ds_read2_b64 v[0:3], v57 offset0:42 offset1:177
	ds_read2_b64 v[12:15], v65 offset0:56 offset1:191
	s_waitcnt lgkmcnt(0)
	s_barrier
	buffer_gl0_inv
	v_fmac_f32_e32 v4, 0xbf5db3d7, v89
	ds_write2_b64 v60, v[10:11], v[43:44] offset1:150
	ds_write_b64 v60, v[8:9] offset:2400
	ds_write2_b64 v55, v[39:40], v[45:46] offset1:150
	ds_write_b64 v55, v[130:131] offset:2400
	;; [unrolled: 2-line block ×3, first 2 shown]
	v_add_f32_e32 v5, v137, v97
	v_add_f32_e32 v4, v6, v136
	v_fma_f32 v6, -0.5, v112, v6
	v_add_f32_e32 v8, v7, v137
	v_sub_f32_e32 v10, v137, v97
	v_mul_u32_u24_e32 v9, 0xe10, v29
	v_lshlrev_b32_sdwa v11, v78, v32 dst_sel:DWORD dst_unused:UNUSED_PAD src0_sel:DWORD src1_sel:WORD_0
	v_fmac_f32_e32 v7, -0.5, v5
	v_sub_f32_e32 v29, v136, v98
	v_add_f32_e32 v5, v8, v97
	v_fmamk_f32 v8, v10, 0x3f5db3d7, v6
	v_add3_u32 v32, 0, v9, v11
	v_fmac_f32_e32 v6, 0xbf5db3d7, v10
	v_add_f32_e32 v10, v100, v101
	v_add_f32_e32 v11, v99, v138
	;; [unrolled: 1-line block ×3, first 2 shown]
	v_fmamk_f32 v9, v29, 0xbf5db3d7, v7
	v_fmac_f32_e32 v7, 0x3f5db3d7, v29
	v_add_f32_e32 v29, v92, v100
	v_add_f32_e32 v39, v93, v99
	v_sub_f32_e32 v41, v99, v138
	v_fma_f32 v10, -0.5, v10, v92
	v_mul_u32_u24_e32 v40, 0xe10, v36
	v_lshlrev_b32_sdwa v42, v78, v37 dst_sel:DWORD dst_unused:UNUSED_PAD src0_sel:DWORD src1_sel:WORD_0
	v_fma_f32 v11, -0.5, v11, v93
	v_sub_f32_e32 v43, v100, v101
	ds_write2_b64 v32, v[4:5], v[8:9] offset1:150
	v_add_f32_e32 v4, v102, v104
	v_add_f32_e32 v36, v29, v101
	;; [unrolled: 1-line block ×3, first 2 shown]
	v_add3_u32 v29, 0, v40, v42
	v_fmamk_f32 v39, v41, 0x3f5db3d7, v10
	v_fmamk_f32 v40, v43, 0xbf5db3d7, v11
	v_fmac_f32_e32 v10, 0xbf5db3d7, v41
	v_fmac_f32_e32 v11, 0x3f5db3d7, v43
	ds_write_b64 v32, v[6:7] offset:2400
	ds_write2_b64 v29, v[36:37], v[39:40] offset1:150
	ds_write_b64 v29, v[10:11] offset:2400
	v_add_f32_e32 v5, v94, v102
	v_fma_f32 v94, -0.5, v4, v94
	v_add_f32_e32 v4, v139, v103
	v_add_f32_e32 v6, v95, v139
	v_sub_f32_e32 v8, v139, v103
	v_mul_u32_u24_e32 v7, 0xe10, v30
	v_lshlrev_b32_sdwa v9, v78, v31 dst_sel:DWORD dst_unused:UNUSED_PAD src0_sel:DWORD src1_sel:WORD_0
	v_fmac_f32_e32 v95, -0.5, v4
	v_sub_f32_e32 v10, v102, v104
	v_add_f32_e32 v4, v5, v104
	v_add_f32_e32 v5, v6, v103
	v_fmamk_f32 v6, v8, 0x3f5db3d7, v94
	v_fmac_f32_e32 v94, 0xbf5db3d7, v8
	v_add_f32_e32 v8, v108, v109
	v_add_f32_e32 v11, v105, v106
	v_add3_u32 v29, 0, v7, v9
	v_fmamk_f32 v7, v10, 0xbf5db3d7, v95
	v_fmac_f32_e32 v95, 0x3f5db3d7, v10
	v_add_f32_e32 v9, v0, v108
	v_add_f32_e32 v10, v1, v105
	v_sub_f32_e32 v30, v105, v106
	v_fma_f32 v0, -0.5, v8, v0
	v_mul_u32_u24_e32 v31, 0xe10, v34
	v_lshlrev_b32_sdwa v32, v78, v38 dst_sel:DWORD dst_unused:UNUSED_PAD src0_sel:DWORD src1_sel:WORD_0
	v_fma_f32 v1, -0.5, v11, v1
	v_sub_f32_e32 v34, v108, v109
	v_add_f32_e32 v8, v9, v109
	v_add_f32_e32 v9, v10, v106
	v_add3_u32 v31, 0, v31, v32
	v_fmamk_f32 v10, v30, 0x3f5db3d7, v0
	v_fmamk_f32 v11, v34, 0xbf5db3d7, v1
	v_fmac_f32_e32 v0, 0xbf5db3d7, v30
	v_fmac_f32_e32 v1, 0x3f5db3d7, v34
	ds_write2_b64 v29, v[4:5], v[6:7] offset1:150
	ds_write_b64 v29, v[94:95] offset:2400
	v_add_f32_e32 v4, v110, v111
	ds_write2_b64 v31, v[8:9], v[10:11] offset1:150
	ds_write_b64 v31, v[0:1] offset:2400
	v_add_f32_e32 v0, v107, v140
	v_add_f32_e32 v6, v85, v49
	;; [unrolled: 1-line block ×3, first 2 shown]
	v_fma_f32 v2, -0.5, v4, v2
	v_add_f32_e32 v4, v3, v107
	v_sub_f32_e32 v5, v107, v140
	v_fmac_f32_e32 v3, -0.5, v0
	v_sub_f32_e32 v7, v110, v111
	v_sub_f32_e32 v11, v50, v52
	v_fma_f32 v6, -0.5, v6, v12
	v_add_f32_e32 v0, v1, v111
	v_add_f32_e32 v1, v4, v140
	v_fmamk_f32 v4, v5, 0x3f5db3d7, v2
	v_fmac_f32_e32 v2, 0xbf5db3d7, v5
	v_fmamk_f32 v5, v7, 0xbf5db3d7, v3
	v_fmac_f32_e32 v3, 0x3f5db3d7, v7
	v_add_f32_e32 v7, v50, v52
	v_fmamk_f32 v10, v11, 0x3f5db3d7, v6
	v_fmac_f32_e32 v6, 0xbf5db3d7, v11
	v_add_f32_e32 v11, v51, v80
	v_add_f32_e32 v30, v81, v83
	;; [unrolled: 1-line block ×3, first 2 shown]
	v_fma_f32 v7, -0.5, v7, v13
	v_add_f32_e32 v12, v14, v51
	v_sub_f32_e32 v29, v85, v49
	v_fma_f32 v14, -0.5, v11, v14
	v_sub_f32_e32 v31, v81, v83
	v_add_f32_e32 v9, v13, v50
	v_add_f32_e32 v13, v15, v81
	v_fmac_f32_e32 v15, -0.5, v30
	v_sub_f32_e32 v32, v51, v80
	v_fmamk_f32 v11, v29, 0xbf5db3d7, v7
	v_fmac_f32_e32 v7, 0x3f5db3d7, v29
	v_fmamk_f32 v29, v31, 0x3f5db3d7, v14
	v_fmac_f32_e32 v14, 0xbf5db3d7, v31
	v_lshlrev_b32_sdwa v31, v78, v35 dst_sel:DWORD dst_unused:UNUSED_PAD src0_sel:DWORD src1_sel:WORD_0
	v_fmamk_f32 v30, v32, 0xbf5db3d7, v15
	v_fmac_f32_e32 v15, 0x3f5db3d7, v32
	v_lshl_add_u32 v32, v33, 3, 0
	v_subrev_nc_u32_e32 v33, 45, v56
	v_add_f32_e32 v8, v8, v49
	v_add_f32_e32 v9, v9, v52
	v_add3_u32 v31, 0, v27, v31
	v_mov_b32_e32 v27, v17
	ds_write2_b64 v28, v[0:1], v[4:5] offset1:150
	ds_write_b64 v28, v[2:3] offset:2400
	ds_write2_b64 v31, v[8:9], v[10:11] offset1:150
	v_cndmask_b32_e64 v8, v33, v74, s0
	v_lshlrev_b64 v[0:1], 3, v[26:27]
	v_add_f32_e32 v12, v12, v80
	v_add_f32_e32 v13, v13, v83
	v_add_nc_u32_e32 v4, 0x7000, v32
	v_lshlrev_b32_e32 v2, 1, v8
	v_mov_b32_e32 v3, v17
	ds_write_b64 v31, v[6:7] offset:2400
	ds_write2_b64 v4, v[12:13], v[29:30] offset0:16 offset1:166
	ds_write_b64 v32, v[14:15] offset:31200
	v_add_co_u32 v4, s0, s8, v0
	v_add_co_ci_u32_e64 v5, s0, s9, v1, s0
	v_lshlrev_b64 v[0:1], 3, v[2:3]
	v_add_co_u32 v2, s0, 0x800, v4
	v_add_co_ci_u32_e64 v3, s0, 0, v5, s0
	v_mov_b32_e32 v14, 0x91a3
	v_add_co_u32 v6, s0, s8, v0
	v_add_co_ci_u32_e64 v7, s0, s9, v1, s0
	v_add_nc_u32_e32 v0, 0xb4, v16
	v_mov_b32_e32 v1, v17
	v_add_co_u32 v6, s0, 0x800, v6
	v_add_co_ci_u32_e64 v7, s0, 0, v7, s0
	v_lshlrev_b64 v[9:10], 3, v[0:1]
	s_waitcnt lgkmcnt(0)
	s_barrier
	buffer_gl0_inv
	s_clause 0x1
	global_load_dwordx4 v[0:3], v[2:3], off offset:1472
	global_load_dwordx4 v[26:29], v[6:7], off offset:1472
	v_mul_u32_u24_sdwa v6, v21, v14 dst_sel:DWORD dst_unused:UNUSED_PAD src0_sel:WORD_0 src1_sel:DWORD
	v_add_nc_u32_e32 v16, 0x1c2, v16
	v_add_co_u32 v9, s0, s8, v9
	v_mul_u32_u24_sdwa v11, v22, v14 dst_sel:DWORD dst_unused:UNUSED_PAD src0_sel:WORD_0 src1_sel:DWORD
	v_add_co_ci_u32_e64 v13, s0, s9, v10, s0
	v_lshrrev_b32_e32 v15, 24, v6
	v_lshlrev_b64 v[6:7], 3, v[16:17]
	v_add_co_u32 v12, s0, 0x800, v9
	v_lshrrev_b32_e32 v10, 24, v11
	v_add_co_ci_u32_e64 v13, s0, 0, v13, s0
	v_add_co_u32 v6, s0, s8, v6
	v_mul_lo_u16 v9, 0x1c2, v15
	v_mul_u32_u24_sdwa v15, v20, v14 dst_sel:DWORD dst_unused:UNUSED_PAD src0_sel:WORD_0 src1_sel:DWORD
	v_add_co_ci_u32_e64 v7, s0, s9, v7, s0
	v_mul_lo_u16 v11, 0x1c2, v10
	v_add_co_u32 v6, s0, 0x800, v6
	v_lshrrev_b32_e32 v15, 24, v15
	v_sub_nc_u16 v9, v21, v9
	v_add_co_ci_u32_e64 v7, s0, 0, v7, s0
	v_sub_nc_u16 v11, v22, v11
	s_clause 0x1
	global_load_dwordx4 v[30:33], v[12:13], off offset:1472
	global_load_dwordx4 v[34:37], v[6:7], off offset:1472
	v_mul_lo_u16 v12, 0x1c2, v15
	v_and_b32_e32 v9, 0xffff, v9
	v_lshlrev_b32_sdwa v16, v24, v11 dst_sel:DWORD dst_unused:UNUSED_PAD src0_sel:DWORD src1_sel:WORD_0
	v_mul_u32_u24_sdwa v7, v23, v14 dst_sel:DWORD dst_unused:UNUSED_PAD src0_sel:WORD_0 src1_sel:DWORD
	v_lshlrev_b32_e32 v8, 3, v8
	v_sub_nc_u16 v12, v20, v12
	v_lshlrev_b32_e32 v6, 4, v9
	v_add_co_u32 v13, s0, s8, v16
	v_add_co_ci_u32_e64 v14, null, s9, 0, s0
	v_lshrrev_b32_e32 v7, 24, v7
	v_and_b32_e32 v12, 0xffff, v12
	v_add_co_u32 v15, s0, s8, v6
	v_add_co_ci_u32_e64 v16, null, s9, 0, s0
	v_add_co_u32 v6, s0, 0x800, v13
	v_mul_lo_u16 v24, 0x1c2, v7
	v_add_co_ci_u32_e64 v7, s0, 0, v14, s0
	v_lshlrev_b32_e32 v42, 4, v12
	v_add_co_u32 v13, s0, 0x800, v15
	v_add_co_ci_u32_e64 v14, s0, 0, v16, s0
	global_load_dwordx4 v[38:41], v[6:7], off offset:1472
	v_add_co_u32 v6, s0, s8, v42
	v_add_co_ci_u32_e64 v7, null, s9, 0, s0
	global_load_dwordx4 v[42:45], v[13:14], off offset:1472
	v_add_co_u32 v6, s0, 0x800, v6
	v_add_co_ci_u32_e64 v7, s0, 0, v7, s0
	v_mov_b32_e32 v15, v17
	v_lshl_add_u32 v12, v12, 3, 0
	global_load_dwordx4 v[46:49], v[6:7], off offset:1472
	v_sub_nc_u16 v13, v23, v24
	v_lshlrev_b32_e32 v14, 1, v77
	v_and_b32_e32 v13, 0xffff, v13
	v_lshlrev_b32_e32 v6, 4, v13
	v_lshl_add_u32 v13, v13, 3, 0
	v_add_co_u32 v6, s0, s8, v6
	v_add_co_ci_u32_e64 v7, null, s9, 0, s0
	v_add_co_u32 v6, s0, 0x800, v6
	v_add_co_ci_u32_e64 v7, s0, 0, v7, s0
	global_load_dwordx4 v[50:53], v[6:7], off offset:1472
	v_lshlrev_b64 v[6:7], 3, v[14:15]
	v_add_co_u32 v14, s0, 0x800, v18
	v_add_co_ci_u32_e64 v15, s0, 0, v19, s0
	v_add_co_u32 v6, s0, s8, v6
	v_add_co_ci_u32_e64 v7, s0, s9, v7, s0
	global_load_dwordx4 v[79:82], v[14:15], off offset:1472
	v_add_co_u32 v14, s0, 0x800, v6
	v_add_co_ci_u32_e64 v15, s0, 0, v7, s0
	v_cmp_lt_u32_e64 s0, 44, v56
	global_load_dwordx4 v[83:86], v[14:15], off offset:1472
	ds_read2_b64 v[87:90], v63 offset0:84 offset1:219
	ds_read2_b64 v[91:94], v73 offset0:26 offset1:161
	;; [unrolled: 1-line block ×8, first 2 shown]
	ds_read_b64 v[14:15], v60 offset:10800
	ds_read2_b64 v[119:122], v70 offset0:12 offset1:147
	s_waitcnt vmcnt(9) lgkmcnt(9)
	v_mul_f32_e32 v16, v88, v1
	v_mul_f32_e32 v24, v87, v1
	s_waitcnt lgkmcnt(8)
	v_mul_f32_e32 v1, v92, v3
	v_mul_f32_e32 v54, v91, v3
	s_waitcnt vmcnt(8)
	v_mul_f32_e32 v3, v90, v27
	v_mul_f32_e32 v55, v89, v27
	;; [unrolled: 1-line block ×4, first 2 shown]
	v_fma_f32 v16, v87, v0, -v16
	v_fmac_f32_e32 v24, v88, v0
	v_fma_f32 v87, v91, v2, -v1
	v_fmac_f32_e32 v55, v90, v26
	;; [unrolled: 2-line block ×4, first 2 shown]
	s_waitcnt vmcnt(7) lgkmcnt(7)
	v_mul_f32_e32 v29, v96, v31
	v_mul_f32_e32 v123, v95, v31
	s_waitcnt lgkmcnt(6)
	v_mul_f32_e32 v31, v100, v33
	v_mul_f32_e32 v124, v99, v33
	s_waitcnt vmcnt(6)
	v_mul_f32_e32 v33, v98, v35
	v_mul_f32_e32 v125, v97, v35
	v_mul_f32_e32 v35, v102, v37
	v_fma_f32 v93, v99, v32, -v31
	v_fmac_f32_e32 v124, v100, v32
	v_mul_f32_e32 v126, v101, v37
	v_fma_f32 v92, v95, v30, -v29
	v_fma_f32 v95, v101, v36, -v35
	ds_read2_b64 v[26:29], v60 offset1:135
	v_fmac_f32_e32 v123, v96, v30
	v_fma_f32 v94, v97, v34, -v33
	v_fmac_f32_e32 v125, v98, v34
	v_fmac_f32_e32 v126, v102, v36
	s_waitcnt vmcnt(5) lgkmcnt(6)
	v_mul_f32_e32 v37, v104, v39
	v_mul_f32_e32 v127, v103, v39
	s_waitcnt lgkmcnt(5)
	v_mul_f32_e32 v39, v108, v41
	v_mul_f32_e32 v128, v107, v41
	s_waitcnt vmcnt(4)
	v_mul_f32_e32 v0, v110, v45
	v_mul_f32_e32 v41, v106, v43
	;; [unrolled: 1-line block ×4, first 2 shown]
	v_fma_f32 v96, v103, v38, -v37
	v_fma_f32 v99, v109, v44, -v0
	;; [unrolled: 1-line block ×3, first 2 shown]
	v_fmac_f32_e32 v129, v106, v42
	s_waitcnt vmcnt(3) lgkmcnt(4)
	v_mul_f32_e32 v1, v112, v47
	s_waitcnt lgkmcnt(3)
	v_mul_f32_e32 v2, v116, v49
	v_mul_f32_e32 v49, v115, v49
	;; [unrolled: 1-line block ×3, first 2 shown]
	v_fmac_f32_e32 v88, v110, v44
	v_fma_f32 v100, v111, v46, -v1
	ds_read2_b32 v[0:1], v25 offset0:154 offset1:155
	v_fma_f32 v101, v115, v48, -v2
	v_fmac_f32_e32 v49, v116, v48
	v_fmac_f32_e32 v91, v112, v46
	;; [unrolled: 1-line block ×3, first 2 shown]
	v_fma_f32 v97, v107, v40, -v39
	v_fmac_f32_e32 v128, v108, v40
	s_waitcnt vmcnt(2)
	v_mul_f32_e32 v3, v114, v51
	v_mul_f32_e32 v51, v113, v51
	;; [unrolled: 1-line block ×3, first 2 shown]
	v_fma_f32 v48, v113, v50, -v3
	v_fmac_f32_e32 v51, v114, v50
	v_mul_f32_e32 v50, v117, v53
	v_fma_f32 v53, v117, v52, -v2
	s_waitcnt vmcnt(1) lgkmcnt(3)
	v_mul_f32_e32 v3, v80, v15
	s_waitcnt lgkmcnt(2)
	v_mul_f32_e32 v30, v82, v120
	v_mul_f32_e32 v47, v80, v14
	;; [unrolled: 1-line block ×3, first 2 shown]
	v_fmac_f32_e32 v50, v118, v52
	v_fma_f32 v46, v79, v14, -v3
	v_fma_f32 v82, v81, v119, -v30
	v_fmac_f32_e32 v47, v79, v15
	s_waitcnt vmcnt(0)
	v_mul_f32_e32 v2, v122, v86
	v_fmac_f32_e32 v80, v81, v120
	v_mul_f32_e32 v79, v121, v86
	v_add_f32_e32 v3, v46, v82
	s_waitcnt lgkmcnt(0)
	v_mul_f32_e32 v30, v84, v0
	v_fma_f32 v52, v121, v85, -v2
	v_mul_f32_e32 v2, v1, v84
	v_fmac_f32_e32 v79, v122, v85
	v_fma_f32 v14, -0.5, v3, v26
	v_sub_f32_e32 v3, v47, v80
	v_fmac_f32_e32 v30, v1, v83
	v_fma_f32 v0, v83, v0, -v2
	v_add_f32_e32 v2, v47, v80
	v_add_nc_u32_e32 v84, 0x1c00, v60
	v_fmamk_f32 v42, v3, 0x3f5db3d7, v14
	v_fmac_f32_e32 v14, 0xbf5db3d7, v3
	v_add_f32_e32 v1, v0, v52
	v_add_f32_e32 v3, v30, v79
	;; [unrolled: 1-line block ×4, first 2 shown]
	v_fma_f32 v15, -0.5, v2, v27
	v_fma_f32 v28, -0.5, v1, v28
	v_sub_f32_e32 v1, v30, v79
	ds_read2_b64 v[30:33], v68 offset0:14 offset1:149
	v_sub_f32_e32 v2, v46, v82
	v_fmac_f32_e32 v29, -0.5, v3
	v_sub_f32_e32 v0, v0, v52
	v_fmamk_f32 v44, v1, 0x3f5db3d7, v28
	v_fmac_f32_e32 v28, 0xbf5db3d7, v1
	v_fmamk_f32 v43, v2, 0xbf5db3d7, v15
	v_fmac_f32_e32 v15, 0x3f5db3d7, v2
	;; [unrolled: 2-line block ×3, first 2 shown]
	v_add_f32_e32 v27, v27, v47
	ds_read2_b64 v[34:37], v72 offset0:28 offset1:163
	ds_read2_b64 v[38:41], v57 offset0:42 offset1:177
	;; [unrolled: 1-line block ×3, first 2 shown]
	s_waitcnt lgkmcnt(0)
	v_add_f32_e32 v26, v26, v46
	s_barrier
	buffer_gl0_inv
	ds_write2_b64 v84, v[14:15], v[28:29] offset0:4 offset1:139
	v_add_f32_e32 v15, v27, v80
	v_add_f32_e32 v27, v16, v87
	;; [unrolled: 1-line block ×7, first 2 shown]
	v_sub_f32_e32 v24, v24, v54
	v_fma_f32 v28, -0.5, v27, v30
	v_fma_f32 v29, -0.5, v29, v31
	v_sub_f32_e32 v16, v16, v87
	v_add_f32_e32 v27, v83, v79
	v_add_f32_e32 v30, v46, v87
	;; [unrolled: 1-line block ×3, first 2 shown]
	v_fmamk_f32 v46, v24, 0x3f5db3d7, v28
	v_fmamk_f32 v47, v16, 0xbf5db3d7, v29
	ds_write2_b64 v60, v[14:15], v[26:27] offset1:135
	ds_write2_b64 v68, v[30:31], v[42:43] offset0:14 offset1:194
	v_add_f32_e32 v14, v89, v90
	v_add_f32_e32 v15, v55, v77
	v_fmac_f32_e32 v28, 0xbf5db3d7, v24
	v_fmac_f32_e32 v29, 0x3f5db3d7, v16
	ds_write2_b64 v72, v[44:45], v[46:47] offset0:73 offset1:208
	ds_write_b64 v60, v[28:29] offset:9360
	v_add_f32_e32 v16, v32, v89
	v_fma_f32 v32, -0.5, v14, v32
	v_sub_f32_e32 v24, v55, v77
	v_add_f32_e32 v27, v33, v55
	v_fmac_f32_e32 v33, -0.5, v15
	v_sub_f32_e32 v26, v89, v90
	v_cndmask_b32_e64 v28, 0, 0x2a30, s0
	v_fmamk_f32 v14, v24, 0x3f5db3d7, v32
	v_fmac_f32_e32 v32, 0xbf5db3d7, v24
	v_add_f32_e32 v24, v92, v93
	v_fmamk_f32 v15, v26, 0xbf5db3d7, v33
	v_fmac_f32_e32 v33, 0x3f5db3d7, v26
	v_add3_u32 v8, 0, v28, v8
	v_add_f32_e32 v26, v16, v90
	v_add_f32_e32 v27, v27, v77
	;; [unrolled: 1-line block ×3, first 2 shown]
	v_fma_f32 v28, -0.5, v24, v34
	ds_write_b64 v8, v[32:33] offset:7200
	v_sub_f32_e32 v24, v123, v124
	ds_write_b64 v8, v[26:27]
	ds_write_b64 v8, v[14:15] offset:3600
	v_add_f32_e32 v8, v94, v95
	v_fma_f32 v29, -0.5, v16, v35
	v_sub_f32_e32 v16, v92, v93
	v_fmamk_f32 v14, v24, 0x3f5db3d7, v28
	v_fmac_f32_e32 v28, 0xbf5db3d7, v24
	v_add_f32_e32 v24, v36, v94
	v_add_f32_e32 v26, v125, v126
	v_fma_f32 v36, -0.5, v8, v36
	v_sub_f32_e32 v8, v125, v126
	v_fmamk_f32 v15, v16, 0xbf5db3d7, v29
	v_fmac_f32_e32 v29, 0x3f5db3d7, v16
	v_add_f32_e32 v16, v37, v125
	v_fmac_f32_e32 v37, -0.5, v26
	v_sub_f32_e32 v30, v94, v95
	v_fmamk_f32 v26, v8, 0x3f5db3d7, v36
	v_fmac_f32_e32 v36, 0xbf5db3d7, v8
	v_add_f32_e32 v8, v34, v92
	v_add_f32_e32 v32, v24, v95
	;; [unrolled: 1-line block ×5, first 2 shown]
	v_fmamk_f32 v27, v30, 0xbf5db3d7, v37
	v_fmac_f32_e32 v37, 0x3f5db3d7, v30
	v_add_f32_e32 v30, v8, v93
	v_add_f32_e32 v33, v16, v126
	;; [unrolled: 1-line block ×4, first 2 shown]
	v_lshlrev_b32_sdwa v43, v78, v11 dst_sel:DWORD dst_unused:UNUSED_PAD src0_sel:DWORD src1_sel:WORD_0
	v_mul_u32_u24_e32 v44, 0x2a30, v10
	v_sub_f32_e32 v45, v127, v128
	v_fma_f32 v10, -0.5, v24, v38
	v_fma_f32 v11, -0.5, v34, v39
	v_sub_f32_e32 v24, v96, v97
	v_add_nc_u32_e32 v42, 0x4800, v60
	v_add_f32_e32 v31, v31, v124
	v_add_f32_e32 v34, v8, v97
	;; [unrolled: 1-line block ×3, first 2 shown]
	v_add3_u32 v8, 0, v44, v43
	v_fmamk_f32 v38, v45, 0x3f5db3d7, v10
	v_fmamk_f32 v39, v24, 0xbf5db3d7, v11
	ds_write2_b64 v42, v[28:29], v[36:37] offset0:36 offset1:171
	ds_write2_b64 v25, v[30:31], v[32:33] offset0:32 offset1:167
	;; [unrolled: 1-line block ×3, first 2 shown]
	ds_write_b64 v8, v[34:35]
	ds_write_b64 v8, v[38:39] offset:3600
	v_fmac_f32_e32 v10, 0xbf5db3d7, v45
	v_add_f32_e32 v14, v98, v99
	v_fmac_f32_e32 v11, 0x3f5db3d7, v24
	v_add_f32_e32 v16, v40, v98
	v_add_f32_e32 v24, v129, v88
	;; [unrolled: 1-line block ×3, first 2 shown]
	v_fma_f32 v40, -0.5, v14, v40
	v_sub_f32_e32 v27, v129, v88
	v_add_f32_e32 v14, v16, v99
	v_fmac_f32_e32 v41, -0.5, v24
	v_sub_f32_e32 v16, v98, v99
	ds_write_b64 v8, v[10:11] offset:7200
	v_add_f32_e32 v10, v100, v101
	v_fmamk_f32 v26, v27, 0x3f5db3d7, v40
	v_fmac_f32_e32 v40, 0xbf5db3d7, v27
	v_add_f32_e32 v8, v0, v100
	v_fmamk_f32 v27, v16, 0xbf5db3d7, v41
	v_fmac_f32_e32 v41, 0x3f5db3d7, v16
	v_sub_f32_e32 v16, v91, v49
	v_fma_f32 v0, -0.5, v10, v0
	v_add_f32_e32 v24, v91, v49
	v_add_f32_e32 v11, v1, v91
	;; [unrolled: 1-line block ×3, first 2 shown]
	v_sub_f32_e32 v8, v100, v101
	v_fmamk_f32 v28, v16, 0x3f5db3d7, v0
	v_fmac_f32_e32 v0, 0xbf5db3d7, v16
	v_add_f32_e32 v16, v48, v53
	v_fma_f32 v1, -0.5, v24, v1
	v_add_f32_e32 v24, v2, v48
	v_add_f32_e32 v15, v15, v88
	v_sub_f32_e32 v32, v51, v50
	v_fma_f32 v2, -0.5, v16, v2
	v_add_f32_e32 v16, v3, v51
	v_fmamk_f32 v29, v8, 0xbf5db3d7, v1
	v_fmac_f32_e32 v1, 0x3f5db3d7, v8
	v_add_f32_e32 v8, v51, v50
	v_sub_f32_e32 v33, v48, v53
	v_add_f32_e32 v31, v16, v50
	v_lshl_add_u32 v16, v9, 3, 0
	v_add_f32_e32 v11, v11, v49
	v_fmac_f32_e32 v3, -0.5, v8
	ds_write_b64 v16, v[14:15] offset:21600
	ds_write_b64 v16, v[26:27] offset:25200
	;; [unrolled: 1-line block ×3, first 2 shown]
	v_lshlrev_b32_e32 v16, 1, v74
	v_add_f32_e32 v30, v24, v53
	v_fmamk_f32 v8, v32, 0x3f5db3d7, v2
	v_fmamk_f32 v9, v33, 0xbf5db3d7, v3
	ds_write_b64 v12, v[10:11] offset:21600
	ds_write_b64 v12, v[28:29] offset:25200
	;; [unrolled: 1-line block ×5, first 2 shown]
	v_lshlrev_b64 v[0:1], 3, v[16:17]
	v_fmac_f32_e32 v2, 0xbf5db3d7, v32
	v_fmac_f32_e32 v3, 0x3f5db3d7, v33
	v_lshlrev_b32_e32 v16, 1, v76
	v_add_co_u32 v8, s0, s8, v0
	v_add_co_ci_u32_e64 v9, s0, s9, v1, s0
	ds_write_b64 v13, v[2:3] offset:28800
	v_add_co_u32 v0, s0, 0x2800, v4
	v_lshlrev_b64 v[2:3], 3, v[16:17]
	v_add_co_ci_u32_e64 v1, s0, 0, v5, s0
	v_add_co_u32 v4, s0, 0x2800, v8
	v_lshlrev_b32_e32 v16, 1, v75
	v_add_co_ci_u32_e64 v5, s0, 0, v9, s0
	v_add_co_u32 v8, s0, s8, v2
	v_add_co_ci_u32_e64 v9, s0, s9, v3, s0
	v_lshlrev_b64 v[2:3], 3, v[16:17]
	v_add_co_u32 v12, s0, 0x2800, v8
	v_lshlrev_b32_e32 v16, 1, v22
	v_add_co_ci_u32_e64 v13, s0, 0, v9, s0
	v_add_co_u32 v2, s0, s8, v2
	v_add_co_ci_u32_e64 v3, s0, s9, v3, s0
	v_lshlrev_b64 v[26:27], 3, v[16:17]
	v_add_co_u32 v28, s0, 0x2800, v2
	v_add_co_ci_u32_e64 v29, s0, 0, v3, s0
	s_waitcnt lgkmcnt(0)
	s_barrier
	buffer_gl0_inv
	s_clause 0x2
	global_load_dwordx4 v[0:3], v[0:1], off offset:480
	global_load_dwordx4 v[8:11], v[4:5], off offset:480
	;; [unrolled: 1-line block ×3, first 2 shown]
	v_add_co_u32 v4, s0, s8, v26
	v_lshlrev_b32_e32 v16, 1, v21
	v_add_co_ci_u32_e64 v5, s0, s9, v27, s0
	v_add_co_u32 v4, s0, 0x2800, v4
	v_lshlrev_b64 v[21:22], 3, v[16:17]
	v_add_co_ci_u32_e64 v5, s0, 0, v5, s0
	global_load_dwordx4 v[26:29], v[28:29], off offset:480
	v_lshlrev_b32_e32 v16, 1, v20
	global_load_dwordx4 v[30:33], v[4:5], off offset:480
	v_add_co_u32 v4, s0, s8, v21
	v_add_co_ci_u32_e64 v5, s0, s9, v22, s0
	v_lshlrev_b64 v[34:35], 3, v[16:17]
	v_add_co_u32 v4, s0, 0x2800, v4
	v_add_co_ci_u32_e64 v5, s0, 0, v5, s0
	v_lshlrev_b32_e32 v16, 1, v23
	global_load_dwordx4 v[20:23], v[4:5], off offset:480
	v_lshlrev_b64 v[4:5], 3, v[16:17]
	v_add_co_u32 v16, s0, s8, v34
	v_add_co_ci_u32_e64 v24, s0, s9, v35, s0
	v_add_co_u32 v34, s0, s8, v4
	v_add_co_ci_u32_e64 v35, s0, s9, v5, s0
	;; [unrolled: 2-line block ×4, first 2 shown]
	s_clause 0x1
	global_load_dwordx4 v[34:37], v[4:5], off offset:480
	global_load_dwordx4 v[38:41], v[38:39], off offset:480
	v_add_co_u32 v4, s0, 0x2800, v18
	v_add_co_ci_u32_e64 v5, s0, 0, v19, s0
	global_load_dwordx4 v[42:45], v[4:5], off offset:480
	v_add_co_u32 v4, s0, 0x2800, v6
	v_add_co_ci_u32_e64 v5, s0, 0, v7, s0
	global_load_dwordx4 v[4:7], v[4:5], off offset:480
	ds_read2_b64 v[46:49], v63 offset0:84 offset1:219
	ds_read2_b64 v[50:53], v73 offset0:26 offset1:161
	;; [unrolled: 1-line block ×7, first 2 shown]
	s_waitcnt vmcnt(9) lgkmcnt(6)
	v_mul_f32_e32 v16, v47, v1
	v_mul_f32_e32 v54, v46, v1
	s_waitcnt lgkmcnt(5)
	v_mul_f32_e32 v1, v51, v3
	v_mul_f32_e32 v55, v50, v3
	s_waitcnt vmcnt(8)
	v_mul_f32_e32 v3, v49, v9
	v_mul_f32_e32 v94, v48, v9
	v_fma_f32 v16, v46, v0, -v16
	v_fmac_f32_e32 v54, v47, v0
	v_fma_f32 v46, v50, v2, -v1
	v_fmac_f32_e32 v55, v51, v2
	v_fma_f32 v47, v48, v8, -v3
	ds_read2_b64 v[0:3], v71 offset0:68 offset1:203
	v_mul_f32_e32 v9, v53, v11
	v_mul_f32_e32 v95, v52, v11
	s_waitcnt vmcnt(7) lgkmcnt(5)
	v_mul_f32_e32 v11, v75, v13
	v_fmac_f32_e32 v94, v49, v8
	s_waitcnt vmcnt(5) lgkmcnt(2)
	v_mul_f32_e32 v8, v87, v33
	v_mul_f32_e32 v96, v74, v13
	v_mul_f32_e32 v13, v79, v15
	v_mul_f32_e32 v97, v78, v15
	v_mul_f32_e32 v15, v77, v27
	v_mul_f32_e32 v98, v76, v27
	v_mul_f32_e32 v18, v81, v29
	v_mul_f32_e32 v19, v83, v31
	v_fma_f32 v48, v52, v10, -v9
	v_fma_f32 v49, v74, v12, -v11
	;; [unrolled: 1-line block ×3, first 2 shown]
	v_fmac_f32_e32 v95, v53, v10
	v_fma_f32 v51, v76, v26, -v15
	s_waitcnt vmcnt(4)
	v_mul_f32_e32 v8, v85, v21
	v_mul_f32_e32 v9, v89, v23
	v_fmac_f32_e32 v98, v77, v26
	v_fma_f32 v52, v80, v28, -v18
	v_fma_f32 v53, v82, v30, -v19
	;; [unrolled: 1-line block ×3, first 2 shown]
	ds_read_b64 v[18:19], v60 offset:10800
	v_fma_f32 v77, v88, v22, -v9
	ds_read2_b64 v[8:11], v70 offset0:12 offset1:147
	v_fma_f32 v50, v78, v14, -v13
	v_mul_f32_e32 v33, v86, v33
	v_fmac_f32_e32 v96, v75, v12
	v_fmac_f32_e32 v97, v79, v14
	v_mul_f32_e32 v99, v80, v29
	v_mul_f32_e32 v100, v82, v31
	v_fmac_f32_e32 v33, v87, v32
	v_mul_f32_e32 v32, v84, v21
	v_mul_f32_e32 v75, v88, v23
	v_fmac_f32_e32 v99, v81, v28
	v_fmac_f32_e32 v100, v83, v30
	s_waitcnt vmcnt(3) lgkmcnt(2)
	v_mul_f32_e32 v13, v1, v37
	v_mul_f32_e32 v37, v0, v37
	;; [unrolled: 1-line block ×3, first 2 shown]
	s_waitcnt vmcnt(2)
	v_mul_f32_e32 v14, v93, v39
	v_fmac_f32_e32 v32, v85, v20
	v_fma_f32 v79, v0, v36, -v13
	v_fmac_f32_e32 v37, v1, v36
	ds_read2_b32 v[0:1], v25 offset0:154 offset1:155
	v_fma_f32 v78, v90, v34, -v12
	v_fma_f32 v80, v92, v38, -v14
	v_mul_f32_e32 v20, v3, v41
	ds_read2_b64 v[12:15], v60 offset1:135
	v_mul_f32_e32 v41, v2, v41
	s_waitcnt vmcnt(1) lgkmcnt(3)
	v_mul_f32_e32 v21, v43, v19
	v_mul_f32_e32 v35, v90, v35
	v_fma_f32 v82, v2, v40, -v20
	s_waitcnt lgkmcnt(2)
	v_mul_f32_e32 v2, v45, v9
	v_fmac_f32_e32 v41, v3, v40
	v_fma_f32 v28, v42, v18, -v21
	v_mul_f32_e32 v29, v43, v18
	v_mul_f32_e32 v30, v45, v8
	s_waitcnt vmcnt(0)
	v_mul_f32_e32 v3, v11, v7
	v_fma_f32 v31, v44, v8, -v2
	v_fmac_f32_e32 v35, v91, v34
	v_mul_f32_e32 v34, v10, v7
	v_fmac_f32_e32 v29, v42, v19
	v_fmac_f32_e32 v30, v44, v9
	v_fma_f32 v36, v10, v6, -v3
	v_add_f32_e32 v2, v28, v31
	s_waitcnt lgkmcnt(1)
	v_mul_f32_e32 v3, v1, v5
	v_mul_f32_e32 v5, v5, v0
	v_fmac_f32_e32 v75, v89, v22
	v_fmac_f32_e32 v34, v11, v6
	s_waitcnt lgkmcnt(0)
	v_fma_f32 v22, -0.5, v2, v12
	v_sub_f32_e32 v2, v29, v30
	v_fma_f32 v0, v4, v0, -v3
	v_fmac_f32_e32 v5, v1, v4
	v_mul_f32_e32 v81, v92, v39
	v_add_f32_e32 v6, v29, v30
	v_fmamk_f32 v24, v2, 0x3f5db3d7, v22
	v_add_f32_e32 v1, v0, v36
	v_fmac_f32_e32 v22, 0xbf5db3d7, v2
	v_add_f32_e32 v2, v5, v34
	v_fmac_f32_e32 v81, v93, v38
	v_add_f32_e32 v38, v14, v0
	v_fma_f32 v14, -0.5, v1, v14
	v_sub_f32_e32 v4, v5, v34
	v_add_f32_e32 v39, v15, v5
	v_fmac_f32_e32 v15, -0.5, v2
	v_sub_f32_e32 v5, v0, v36
	ds_read2_b64 v[0:3], v68 offset0:14 offset1:149
	v_fma_f32 v23, -0.5, v6, v13
	v_sub_f32_e32 v6, v28, v31
	v_fmamk_f32 v26, v4, 0x3f5db3d7, v14
	v_fmac_f32_e32 v14, 0xbf5db3d7, v4
	v_fmamk_f32 v27, v5, 0xbf5db3d7, v15
	v_fmac_f32_e32 v15, 0x3f5db3d7, v5
	;; [unrolled: 2-line block ×3, first 2 shown]
	v_add_f32_e32 v12, v12, v28
	v_add_f32_e32 v13, v13, v29
	ds_read2_b64 v[4:7], v72 offset0:28 offset1:163
	ds_read2_b64 v[8:11], v57 offset0:42 offset1:177
	;; [unrolled: 1-line block ×3, first 2 shown]
	s_waitcnt lgkmcnt(0)
	s_barrier
	buffer_gl0_inv
	v_add_f32_e32 v12, v12, v31
	v_add_f32_e32 v31, v16, v46
	;; [unrolled: 1-line block ×6, first 2 shown]
	ds_write2_b64 v70, v[22:23], v[14:15] offset0:12 offset1:147
	v_add_f32_e32 v15, v47, v48
	v_add_f32_e32 v23, v94, v95
	v_fma_f32 v30, -0.5, v31, v0
	v_sub_f32_e32 v34, v54, v55
	v_fma_f32 v31, -0.5, v36, v1
	v_sub_f32_e32 v14, v16, v46
	ds_write2_b64 v60, v[12:13], v[28:29] offset1:135
	v_add_f32_e32 v22, v2, v47
	v_fma_f32 v2, -0.5, v15, v2
	v_sub_f32_e32 v15, v94, v95
	v_add_f32_e32 v28, v3, v94
	v_fmac_f32_e32 v3, -0.5, v23
	v_sub_f32_e32 v23, v47, v48
	v_add_f32_e32 v0, v0, v16
	v_add_f32_e32 v1, v1, v54
	v_fmamk_f32 v12, v34, 0x3f5db3d7, v30
	v_fmac_f32_e32 v30, 0xbf5db3d7, v34
	v_fmamk_f32 v13, v14, 0xbf5db3d7, v31
	v_fmac_f32_e32 v31, 0x3f5db3d7, v14
	;; [unrolled: 2-line block ×4, first 2 shown]
	v_add_f32_e32 v0, v0, v46
	v_add_f32_e32 v1, v1, v55
	;; [unrolled: 1-line block ×5, first 2 shown]
	ds_write2_b64 v73, v[30:31], v[2:3] offset0:26 offset1:161
	v_sub_f32_e32 v3, v96, v97
	v_add_f32_e32 v2, v4, v49
	ds_write2_b64 v68, v[0:1], v[22:23] offset0:14 offset1:149
	v_fma_f32 v0, -0.5, v16, v4
	v_add_f32_e32 v16, v5, v96
	v_add_f32_e32 v1, v96, v97
	ds_write2_b64 v69, v[24:25], v[26:27] offset0:70 offset1:205
	v_sub_f32_e32 v22, v49, v50
	v_fmamk_f32 v4, v3, 0x3f5db3d7, v0
	v_fmac_f32_e32 v0, 0xbf5db3d7, v3
	v_add_f32_e32 v3, v16, v97
	v_add_f32_e32 v16, v51, v52
	v_fma_f32 v1, -0.5, v1, v5
	v_add_f32_e32 v23, v6, v51
	v_add_f32_e32 v24, v98, v99
	v_sub_f32_e32 v26, v51, v52
	v_fma_f32 v6, -0.5, v16, v6
	v_sub_f32_e32 v16, v98, v99
	v_fmamk_f32 v5, v22, 0xbf5db3d7, v1
	v_fmac_f32_e32 v1, 0x3f5db3d7, v22
	v_add_f32_e32 v22, v23, v52
	v_add_f32_e32 v23, v7, v98
	v_fmac_f32_e32 v7, -0.5, v24
	v_fmamk_f32 v24, v16, 0x3f5db3d7, v6
	v_fmac_f32_e32 v6, 0xbf5db3d7, v16
	v_add_f32_e32 v16, v8, v53
	v_add_f32_e32 v28, v53, v74
	;; [unrolled: 1-line block ×4, first 2 shown]
	v_fmamk_f32 v25, v26, 0xbf5db3d7, v7
	v_fmac_f32_e32 v7, 0x3f5db3d7, v26
	v_sub_f32_e32 v30, v100, v33
	v_fma_f32 v8, -0.5, v28, v8
	v_add_f32_e32 v26, v16, v74
	v_fma_f32 v9, -0.5, v29, v9
	v_sub_f32_e32 v16, v53, v74
	v_add_f32_e32 v27, v27, v33
	v_fmamk_f32 v28, v30, 0x3f5db3d7, v8
	v_fmac_f32_e32 v8, 0xbf5db3d7, v30
	v_add_f32_e32 v30, v76, v77
	v_fmamk_f32 v29, v16, 0xbf5db3d7, v9
	v_fmac_f32_e32 v9, 0x3f5db3d7, v16
	v_add_f32_e32 v16, v32, v75
	v_add_f32_e32 v31, v10, v76
	v_fma_f32 v10, -0.5, v30, v10
	v_add_f32_e32 v33, v11, v32
	v_sub_f32_e32 v34, v32, v75
	v_fmac_f32_e32 v11, -0.5, v16
	v_sub_f32_e32 v16, v76, v77
	v_add_f32_e32 v30, v31, v77
	v_add_f32_e32 v31, v33, v75
	v_fmamk_f32 v32, v34, 0x3f5db3d7, v10
	v_fmac_f32_e32 v10, 0xbf5db3d7, v34
	v_add_f32_e32 v34, v78, v79
	v_fmamk_f32 v33, v16, 0xbf5db3d7, v11
	v_fmac_f32_e32 v11, 0x3f5db3d7, v16
	v_add_f32_e32 v16, v35, v37
	v_add_f32_e32 v36, v18, v78
	v_add_f32_e32 v38, v19, v35
	v_sub_f32_e32 v39, v35, v37
	v_fma_f32 v18, -0.5, v34, v18
	v_fma_f32 v19, -0.5, v16, v19
	v_add_f32_e32 v16, v80, v82
	v_add_f32_e32 v42, v81, v41
	;; [unrolled: 1-line block ×4, first 2 shown]
	v_fmamk_f32 v36, v39, 0x3f5db3d7, v18
	v_fmac_f32_e32 v18, 0xbf5db3d7, v39
	v_add_f32_e32 v37, v20, v80
	v_add_f32_e32 v39, v21, v81
	v_sub_f32_e32 v40, v78, v79
	v_fma_f32 v20, -0.5, v16, v20
	v_sub_f32_e32 v16, v81, v41
	v_fmac_f32_e32 v21, -0.5, v42
	v_sub_f32_e32 v42, v80, v82
	v_add_f32_e32 v2, v2, v50
	v_add_f32_e32 v23, v23, v99
	;; [unrolled: 1-line block ×4, first 2 shown]
	v_fmamk_f32 v37, v40, 0xbf5db3d7, v19
	v_fmac_f32_e32 v19, 0x3f5db3d7, v40
	v_fmamk_f32 v40, v16, 0x3f5db3d7, v20
	v_fmac_f32_e32 v20, 0xbf5db3d7, v16
	;; [unrolled: 2-line block ×3, first 2 shown]
	ds_write2_b64 v63, v[12:13], v[14:15] offset0:84 offset1:219
	ds_write2_b64 v72, v[2:3], v[22:23] offset0:28 offset1:163
	ds_write2_b64 v67, v[4:5], v[24:25] offset0:98 offset1:233
	ds_write2_b64 v62, v[0:1], v[6:7] offset0:40 offset1:175
	ds_write2_b64 v57, v[26:27], v[30:31] offset0:42 offset1:177
	ds_write2_b64 v64, v[28:29], v[32:33] offset0:112 offset1:247
	ds_write2_b64 v66, v[8:9], v[10:11] offset0:54 offset1:189
	ds_write2_b64 v65, v[34:35], v[38:39] offset0:56 offset1:191
	ds_write2_b64 v61, v[36:37], v[40:41] offset0:62 offset1:197
	ds_write2_b64 v71, v[18:19], v[20:21] offset0:68 offset1:203
	s_waitcnt lgkmcnt(0)
	s_barrier
	buffer_gl0_inv
	s_and_saveexec_b32 s0, vcc_lo
	s_cbranch_execz .LBB0_19
; %bb.18:
	v_lshl_add_u32 v24, v56, 3, 0
	v_mov_b32_e32 v57, v17
	v_add_nc_u32_e32 v16, 0x87, v56
	v_add_co_u32 v25, vcc_lo, s2, v58
	ds_read2_b64 v[0:3], v24 offset1:135
	v_add_nc_u32_e32 v4, 0x800, v24
	v_lshlrev_b64 v[8:9], 3, v[56:57]
	v_lshlrev_b64 v[10:11], 3, v[16:17]
	v_add_nc_u32_e32 v16, 0x10e, v56
	v_add_co_ci_u32_e32 v26, vcc_lo, s3, v59, vcc_lo
	ds_read2_b64 v[4:7], v4 offset0:14 offset1:149
	v_add_co_u32 v8, vcc_lo, v25, v8
	v_lshlrev_b64 v[12:13], 3, v[16:17]
	v_add_nc_u32_e32 v16, 0x195, v56
	v_add_co_ci_u32_e32 v9, vcc_lo, v26, v9, vcc_lo
	v_add_co_u32 v10, vcc_lo, v25, v10
	v_lshlrev_b64 v[14:15], 3, v[16:17]
	v_add_nc_u32_e32 v16, 0x21c, v56
	v_add_co_ci_u32_e32 v11, vcc_lo, v26, v11, vcc_lo
	s_waitcnt lgkmcnt(1)
	global_store_dwordx2 v[8:9], v[0:1], off
	v_add_co_u32 v0, vcc_lo, v25, v12
	v_add_co_ci_u32_e32 v1, vcc_lo, v26, v13, vcc_lo
	v_add_co_u32 v8, vcc_lo, v25, v14
	v_lshlrev_b64 v[12:13], 3, v[16:17]
	v_add_nc_u32_e32 v16, 0x2a3, v56
	v_add_co_ci_u32_e32 v9, vcc_lo, v26, v15, vcc_lo
	v_add_nc_u32_e32 v14, 0x1000, v24
	global_store_dwordx2 v[10:11], v[2:3], off
	s_waitcnt lgkmcnt(0)
	global_store_dwordx2 v[0:1], v[4:5], off
	global_store_dwordx2 v[8:9], v[6:7], off
	v_lshlrev_b64 v[8:9], 3, v[16:17]
	v_add_nc_u32_e32 v16, 0x32a, v56
	v_add_nc_u32_e32 v4, 0x1800, v24
	ds_read2_b64 v[0:3], v14 offset0:28 offset1:163
	v_add_co_u32 v12, vcc_lo, v25, v12
	v_lshlrev_b64 v[10:11], 3, v[16:17]
	v_add_nc_u32_e32 v16, 0x3b1, v56
	v_add_co_ci_u32_e32 v13, vcc_lo, v26, v13, vcc_lo
	ds_read2_b64 v[4:7], v4 offset0:42 offset1:177
	v_add_co_u32 v14, vcc_lo, v25, v8
	v_add_co_ci_u32_e32 v15, vcc_lo, v26, v9, vcc_lo
	v_lshlrev_b64 v[8:9], 3, v[16:17]
	v_add_co_u32 v18, vcc_lo, v25, v10
	v_add_nc_u32_e32 v10, 0x2000, v24
	v_add_co_ci_u32_e32 v19, vcc_lo, v26, v11, vcc_lo
	v_add_nc_u32_e32 v16, 0x438, v56
	v_add_co_u32 v20, vcc_lo, v25, v8
	v_add_co_ci_u32_e32 v21, vcc_lo, v26, v9, vcc_lo
	ds_read2_b64 v[8:11], v10 offset0:56 offset1:191
	v_lshlrev_b64 v[22:23], 3, v[16:17]
	v_add_nc_u32_e32 v16, 0x4bf, v56
	s_waitcnt lgkmcnt(2)
	global_store_dwordx2 v[12:13], v[0:1], off
	global_store_dwordx2 v[14:15], v[2:3], off
	s_waitcnt lgkmcnt(1)
	global_store_dwordx2 v[18:19], v[4:5], off
	global_store_dwordx2 v[20:21], v[6:7], off
	v_add_nc_u32_e32 v4, 0x2800, v24
	v_add_nc_u32_e32 v5, 0x3000, v24
	;; [unrolled: 1-line block ×3, first 2 shown]
	v_lshlrev_b64 v[0:1], 3, v[16:17]
	v_add_co_u32 v2, vcc_lo, v25, v22
	v_add_co_ci_u32_e32 v3, vcc_lo, v26, v23, vcc_lo
	v_add_nc_u32_e32 v16, 0x546, v56
	v_add_co_u32 v0, vcc_lo, v25, v0
	v_add_co_ci_u32_e32 v1, vcc_lo, v26, v1, vcc_lo
	v_lshlrev_b64 v[12:13], 3, v[16:17]
	v_add_nc_u32_e32 v16, 0x5cd, v56
	s_waitcnt lgkmcnt(0)
	global_store_dwordx2 v[2:3], v[8:9], off
	global_store_dwordx2 v[0:1], v[10:11], off
	ds_read2_b64 v[0:3], v4 offset0:70 offset1:205
	ds_read2_b64 v[4:7], v5 offset0:84 offset1:219
	v_lshlrev_b64 v[8:9], 3, v[16:17]
	v_add_nc_u32_e32 v16, 0x654, v56
	v_add_co_u32 v10, vcc_lo, v25, v12
	v_add_co_ci_u32_e32 v11, vcc_lo, v26, v13, vcc_lo
	v_lshlrev_b64 v[12:13], 3, v[16:17]
	v_add_co_u32 v8, vcc_lo, v25, v8
	v_add_co_ci_u32_e32 v9, vcc_lo, v26, v9, vcc_lo
	v_add_nc_u32_e32 v16, 0x6db, v56
	v_add_co_u32 v12, vcc_lo, v25, v12
	v_add_co_ci_u32_e32 v13, vcc_lo, v26, v13, vcc_lo
	v_lshlrev_b64 v[14:15], 3, v[16:17]
	v_add_nc_u32_e32 v16, 0x762, v56
	s_waitcnt lgkmcnt(1)
	global_store_dwordx2 v[10:11], v[0:1], off
	global_store_dwordx2 v[8:9], v[2:3], off
	s_waitcnt lgkmcnt(0)
	global_store_dwordx2 v[12:13], v[4:5], off
	ds_read2_b64 v[0:3], v18 offset0:98 offset1:233
	v_lshlrev_b64 v[4:5], 3, v[16:17]
	v_add_nc_u32_e32 v16, 0x7e9, v56
	v_add_co_u32 v8, vcc_lo, v25, v14
	v_add_co_ci_u32_e32 v9, vcc_lo, v26, v15, vcc_lo
	v_lshlrev_b64 v[10:11], 3, v[16:17]
	v_add_nc_u32_e32 v16, 0x870, v56
	v_add_co_u32 v4, vcc_lo, v25, v4
	v_add_co_ci_u32_e32 v5, vcc_lo, v26, v5, vcc_lo
	v_add_co_u32 v10, vcc_lo, v25, v10
	v_lshlrev_b64 v[12:13], 3, v[16:17]
	v_add_nc_u32_e32 v16, 0x8f7, v56
	v_add_co_ci_u32_e32 v11, vcc_lo, v26, v11, vcc_lo
	global_store_dwordx2 v[8:9], v[6:7], off
	s_waitcnt lgkmcnt(0)
	global_store_dwordx2 v[4:5], v[0:1], off
	global_store_dwordx2 v[10:11], v[2:3], off
	v_lshlrev_b64 v[8:9], 3, v[16:17]
	v_add_nc_u32_e32 v16, 0x97e, v56
	v_add_nc_u32_e32 v14, 0x4000, v24
	;; [unrolled: 1-line block ×3, first 2 shown]
	v_add_co_u32 v12, vcc_lo, v25, v12
	v_lshlrev_b64 v[10:11], 3, v[16:17]
	v_add_nc_u32_e32 v16, 0xa05, v56
	ds_read2_b64 v[0:3], v14 offset0:112 offset1:247
	v_add_co_ci_u32_e32 v13, vcc_lo, v26, v13, vcc_lo
	ds_read2_b64 v[4:7], v4 offset0:62 offset1:197
	v_add_co_u32 v14, vcc_lo, v25, v8
	v_add_co_ci_u32_e32 v15, vcc_lo, v26, v9, vcc_lo
	v_lshlrev_b64 v[8:9], 3, v[16:17]
	v_add_co_u32 v18, vcc_lo, v25, v10
	v_add_nc_u32_e32 v10, 0x5400, v24
	v_add_co_ci_u32_e32 v19, vcc_lo, v26, v11, vcc_lo
	v_add_nc_u32_e32 v16, 0xa8c, v56
	v_add_co_u32 v20, vcc_lo, v25, v8
	v_add_co_ci_u32_e32 v21, vcc_lo, v26, v9, vcc_lo
	ds_read2_b64 v[8:11], v10 offset0:12 offset1:147
	v_lshlrev_b64 v[22:23], 3, v[16:17]
	v_add_nc_u32_e32 v16, 0xb13, v56
	s_waitcnt lgkmcnt(2)
	global_store_dwordx2 v[12:13], v[0:1], off
	global_store_dwordx2 v[14:15], v[2:3], off
	s_waitcnt lgkmcnt(1)
	global_store_dwordx2 v[18:19], v[4:5], off
	global_store_dwordx2 v[20:21], v[6:7], off
	v_add_nc_u32_e32 v4, 0x5c00, v24
	v_add_nc_u32_e32 v5, 0x6400, v24
	v_lshlrev_b64 v[0:1], 3, v[16:17]
	v_add_co_u32 v2, vcc_lo, v25, v22
	v_add_co_ci_u32_e32 v3, vcc_lo, v26, v23, vcc_lo
	v_add_nc_u32_e32 v16, 0xb9a, v56
	v_add_co_u32 v0, vcc_lo, v25, v0
	v_add_co_ci_u32_e32 v1, vcc_lo, v26, v1, vcc_lo
	v_lshlrev_b64 v[12:13], 3, v[16:17]
	v_add_nc_u32_e32 v16, 0xc21, v56
	s_waitcnt lgkmcnt(0)
	global_store_dwordx2 v[2:3], v[8:9], off
	global_store_dwordx2 v[0:1], v[10:11], off
	ds_read2_b64 v[0:3], v4 offset0:26 offset1:161
	ds_read2_b64 v[4:7], v5 offset0:40 offset1:175
	v_lshlrev_b64 v[8:9], 3, v[16:17]
	v_add_nc_u32_e32 v16, 0xca8, v56
	v_add_co_u32 v10, vcc_lo, v25, v12
	v_add_co_ci_u32_e32 v11, vcc_lo, v26, v13, vcc_lo
	v_lshlrev_b64 v[12:13], 3, v[16:17]
	v_add_nc_u32_e32 v16, 0xd2f, v56
	v_add_co_u32 v8, vcc_lo, v25, v8
	v_add_co_ci_u32_e32 v9, vcc_lo, v26, v9, vcc_lo
	v_add_co_u32 v12, vcc_lo, v25, v12
	v_lshlrev_b64 v[14:15], 3, v[16:17]
	v_add_nc_u32_e32 v16, 0xdb6, v56
	v_add_co_ci_u32_e32 v13, vcc_lo, v26, v13, vcc_lo
	s_waitcnt lgkmcnt(1)
	global_store_dwordx2 v[10:11], v[0:1], off
	global_store_dwordx2 v[8:9], v[2:3], off
	s_waitcnt lgkmcnt(0)
	global_store_dwordx2 v[12:13], v[4:5], off
	v_add_nc_u32_e32 v0, 0x6c00, v24
	v_lshlrev_b64 v[4:5], 3, v[16:17]
	v_add_nc_u32_e32 v16, 0xe3d, v56
	v_add_nc_u32_e32 v8, 0x7400, v24
	v_add_co_u32 v12, vcc_lo, v25, v14
	v_add_co_ci_u32_e32 v13, vcc_lo, v26, v15, vcc_lo
	ds_read2_b64 v[0:3], v0 offset0:54 offset1:189
	v_lshlrev_b64 v[14:15], 3, v[16:17]
	v_add_nc_u32_e32 v16, 0xec4, v56
	ds_read2_b64 v[8:11], v8 offset0:68 offset1:203
	v_add_co_u32 v4, vcc_lo, v25, v4
	v_add_co_ci_u32_e32 v5, vcc_lo, v26, v5, vcc_lo
	v_lshlrev_b64 v[18:19], 3, v[16:17]
	v_add_nc_u32_e32 v16, 0xf4b, v56
	v_add_co_u32 v14, vcc_lo, v25, v14
	v_add_co_ci_u32_e32 v15, vcc_lo, v26, v15, vcc_lo
	v_lshlrev_b64 v[16:17], 3, v[16:17]
	v_add_co_u32 v18, vcc_lo, v25, v18
	v_add_co_ci_u32_e32 v19, vcc_lo, v26, v19, vcc_lo
	v_add_co_u32 v16, vcc_lo, v25, v16
	v_add_co_ci_u32_e32 v17, vcc_lo, v26, v17, vcc_lo
	global_store_dwordx2 v[12:13], v[6:7], off
	s_waitcnt lgkmcnt(1)
	global_store_dwordx2 v[4:5], v[0:1], off
	global_store_dwordx2 v[14:15], v[2:3], off
	s_waitcnt lgkmcnt(0)
	global_store_dwordx2 v[18:19], v[8:9], off
	global_store_dwordx2 v[16:17], v[10:11], off
.LBB0_19:
	s_endpgm
	.section	.rodata,"a",@progbits
	.p2align	6, 0x0
	.amdhsa_kernel fft_rtc_fwd_len4050_factors_10_5_3_3_3_3_wgs_135_tpt_135_halfLds_sp_ip_CI_unitstride_sbrr_C2R_dirReg
		.amdhsa_group_segment_fixed_size 0
		.amdhsa_private_segment_fixed_size 0
		.amdhsa_kernarg_size 88
		.amdhsa_user_sgpr_count 6
		.amdhsa_user_sgpr_private_segment_buffer 1
		.amdhsa_user_sgpr_dispatch_ptr 0
		.amdhsa_user_sgpr_queue_ptr 0
		.amdhsa_user_sgpr_kernarg_segment_ptr 1
		.amdhsa_user_sgpr_dispatch_id 0
		.amdhsa_user_sgpr_flat_scratch_init 0
		.amdhsa_user_sgpr_private_segment_size 0
		.amdhsa_wavefront_size32 1
		.amdhsa_uses_dynamic_stack 0
		.amdhsa_system_sgpr_private_segment_wavefront_offset 0
		.amdhsa_system_sgpr_workgroup_id_x 1
		.amdhsa_system_sgpr_workgroup_id_y 0
		.amdhsa_system_sgpr_workgroup_id_z 0
		.amdhsa_system_sgpr_workgroup_info 0
		.amdhsa_system_vgpr_workitem_id 0
		.amdhsa_next_free_vgpr 156
		.amdhsa_next_free_sgpr 21
		.amdhsa_reserve_vcc 1
		.amdhsa_reserve_flat_scratch 0
		.amdhsa_float_round_mode_32 0
		.amdhsa_float_round_mode_16_64 0
		.amdhsa_float_denorm_mode_32 3
		.amdhsa_float_denorm_mode_16_64 3
		.amdhsa_dx10_clamp 1
		.amdhsa_ieee_mode 1
		.amdhsa_fp16_overflow 0
		.amdhsa_workgroup_processor_mode 1
		.amdhsa_memory_ordered 1
		.amdhsa_forward_progress 0
		.amdhsa_shared_vgpr_count 0
		.amdhsa_exception_fp_ieee_invalid_op 0
		.amdhsa_exception_fp_denorm_src 0
		.amdhsa_exception_fp_ieee_div_zero 0
		.amdhsa_exception_fp_ieee_overflow 0
		.amdhsa_exception_fp_ieee_underflow 0
		.amdhsa_exception_fp_ieee_inexact 0
		.amdhsa_exception_int_div_zero 0
	.end_amdhsa_kernel
	.text
.Lfunc_end0:
	.size	fft_rtc_fwd_len4050_factors_10_5_3_3_3_3_wgs_135_tpt_135_halfLds_sp_ip_CI_unitstride_sbrr_C2R_dirReg, .Lfunc_end0-fft_rtc_fwd_len4050_factors_10_5_3_3_3_3_wgs_135_tpt_135_halfLds_sp_ip_CI_unitstride_sbrr_C2R_dirReg
                                        ; -- End function
	.section	.AMDGPU.csdata,"",@progbits
; Kernel info:
; codeLenInByte = 21252
; NumSgprs: 23
; NumVgprs: 156
; ScratchSize: 0
; MemoryBound: 0
; FloatMode: 240
; IeeeMode: 1
; LDSByteSize: 0 bytes/workgroup (compile time only)
; SGPRBlocks: 2
; VGPRBlocks: 19
; NumSGPRsForWavesPerEU: 23
; NumVGPRsForWavesPerEU: 156
; Occupancy: 6
; WaveLimiterHint : 1
; COMPUTE_PGM_RSRC2:SCRATCH_EN: 0
; COMPUTE_PGM_RSRC2:USER_SGPR: 6
; COMPUTE_PGM_RSRC2:TRAP_HANDLER: 0
; COMPUTE_PGM_RSRC2:TGID_X_EN: 1
; COMPUTE_PGM_RSRC2:TGID_Y_EN: 0
; COMPUTE_PGM_RSRC2:TGID_Z_EN: 0
; COMPUTE_PGM_RSRC2:TIDIG_COMP_CNT: 0
	.text
	.p2alignl 6, 3214868480
	.fill 48, 4, 3214868480
	.type	__hip_cuid_e5a588c8080017f0,@object ; @__hip_cuid_e5a588c8080017f0
	.section	.bss,"aw",@nobits
	.globl	__hip_cuid_e5a588c8080017f0
__hip_cuid_e5a588c8080017f0:
	.byte	0                               ; 0x0
	.size	__hip_cuid_e5a588c8080017f0, 1

	.ident	"AMD clang version 19.0.0git (https://github.com/RadeonOpenCompute/llvm-project roc-6.4.0 25133 c7fe45cf4b819c5991fe208aaa96edf142730f1d)"
	.section	".note.GNU-stack","",@progbits
	.addrsig
	.addrsig_sym __hip_cuid_e5a588c8080017f0
	.amdgpu_metadata
---
amdhsa.kernels:
  - .args:
      - .actual_access:  read_only
        .address_space:  global
        .offset:         0
        .size:           8
        .value_kind:     global_buffer
      - .offset:         8
        .size:           8
        .value_kind:     by_value
      - .actual_access:  read_only
        .address_space:  global
        .offset:         16
        .size:           8
        .value_kind:     global_buffer
      - .actual_access:  read_only
        .address_space:  global
        .offset:         24
        .size:           8
        .value_kind:     global_buffer
      - .offset:         32
        .size:           8
        .value_kind:     by_value
      - .actual_access:  read_only
        .address_space:  global
        .offset:         40
        .size:           8
        .value_kind:     global_buffer
      - .actual_access:  read_only
        .address_space:  global
        .offset:         48
        .size:           8
        .value_kind:     global_buffer
      - .offset:         56
        .size:           4
        .value_kind:     by_value
      - .actual_access:  read_only
        .address_space:  global
        .offset:         64
        .size:           8
        .value_kind:     global_buffer
      - .actual_access:  read_only
        .address_space:  global
        .offset:         72
        .size:           8
        .value_kind:     global_buffer
      - .address_space:  global
        .offset:         80
        .size:           8
        .value_kind:     global_buffer
    .group_segment_fixed_size: 0
    .kernarg_segment_align: 8
    .kernarg_segment_size: 88
    .language:       OpenCL C
    .language_version:
      - 2
      - 0
    .max_flat_workgroup_size: 135
    .name:           fft_rtc_fwd_len4050_factors_10_5_3_3_3_3_wgs_135_tpt_135_halfLds_sp_ip_CI_unitstride_sbrr_C2R_dirReg
    .private_segment_fixed_size: 0
    .sgpr_count:     23
    .sgpr_spill_count: 0
    .symbol:         fft_rtc_fwd_len4050_factors_10_5_3_3_3_3_wgs_135_tpt_135_halfLds_sp_ip_CI_unitstride_sbrr_C2R_dirReg.kd
    .uniform_work_group_size: 1
    .uses_dynamic_stack: false
    .vgpr_count:     156
    .vgpr_spill_count: 0
    .wavefront_size: 32
    .workgroup_processor_mode: 1
amdhsa.target:   amdgcn-amd-amdhsa--gfx1030
amdhsa.version:
  - 1
  - 2
...

	.end_amdgpu_metadata
